;; amdgpu-corpus repo=ROCm/rocFFT kind=compiled arch=gfx1201 opt=O3
	.text
	.amdgcn_target "amdgcn-amd-amdhsa--gfx1201"
	.amdhsa_code_object_version 6
	.protected	bluestein_single_back_len405_dim1_dp_op_CI_CI ; -- Begin function bluestein_single_back_len405_dim1_dp_op_CI_CI
	.globl	bluestein_single_back_len405_dim1_dp_op_CI_CI
	.p2align	8
	.type	bluestein_single_back_len405_dim1_dp_op_CI_CI,@function
bluestein_single_back_len405_dim1_dp_op_CI_CI: ; @bluestein_single_back_len405_dim1_dp_op_CI_CI
; %bb.0:
	s_load_b128 s[16:19], s[0:1], 0x28
	v_mul_u32_u24_e32 v1, 0x97c, v0
	v_mov_b32_e32 v3, 0
	s_mov_b32 s2, exec_lo
	s_delay_alu instid0(VALU_DEP_2) | instskip(NEXT) | instid1(VALU_DEP_1)
	v_lshrrev_b32_e32 v116, 16, v1
	v_lshl_add_u32 v2, ttmp9, 2, v116
	s_wait_kmcnt 0x0
	s_delay_alu instid0(VALU_DEP_1)
	v_cmpx_gt_u64_e64 s[16:17], v[2:3]
	s_cbranch_execz .LBB0_2
; %bb.1:
	s_clause 0x1
	s_load_b128 s[4:7], s[0:1], 0x18
	s_load_b128 s[8:11], s[0:1], 0x0
	v_mul_lo_u16 v1, v116, 27
	v_mov_b32_e32 v4, v2
	s_mov_b32 s20, 0x134454ff
	s_mov_b32 s21, 0x3fee6f0e
	;; [unrolled: 1-line block ×3, first 2 shown]
	v_sub_nc_u16 v237, v0, v1
	scratch_store_b64 off, v[4:5], off      ; 8-byte Folded Spill
	s_mov_b32 s22, s20
	s_mov_b32 s17, 0xbfe2cf23
	s_load_b64 s[0:1], s[0:1], 0x38
	v_and_b32_e32 v140, 0xffff, v237
	s_wait_kmcnt 0x0
	s_load_b128 s[12:15], s[4:5], 0x0
	s_wait_kmcnt 0x0
	v_mad_co_u64_u32 v[0:1], null, s14, v2, 0
	v_mad_co_u64_u32 v[2:3], null, s12, v140, 0
	s_mul_u64 s[2:3], s[12:13], 0x510
	s_mul_i32 s4, s13, 0xffffed70
	s_delay_alu instid0(SALU_CYCLE_1) | instskip(NEXT) | instid1(VALU_DEP_1)
	s_sub_co_i32 s4, s4, s12
	v_mad_co_u64_u32 v[4:5], null, s15, v4, v[1:2]
	s_mov_b32 s14, 0x4755a5e
	s_mov_b32 s15, 0x3fe2cf23
	s_wait_alu 0xfffe
	s_mov_b32 s16, s14
	s_delay_alu instid0(VALU_DEP_1) | instskip(SKIP_3) | instid1(VALU_DEP_3)
	v_mov_b32_e32 v1, v4
	v_mad_co_u64_u32 v[5:6], null, s13, v140, v[3:4]
	v_lshlrev_b32_e32 v223, 4, v140
	s_mov_b32 s13, 0xbfebb67a
	v_lshlrev_b64_e32 v[0:1], 4, v[0:1]
	s_delay_alu instid0(VALU_DEP_3) | instskip(NEXT) | instid1(VALU_DEP_2)
	v_mov_b32_e32 v3, v5
	v_add_co_u32 v0, vcc_lo, s18, v0
	s_delay_alu instid0(VALU_DEP_3) | instskip(NEXT) | instid1(VALU_DEP_3)
	v_add_co_ci_u32_e32 v1, vcc_lo, s19, v1, vcc_lo
	v_lshlrev_b64_e32 v[2:3], 4, v[2:3]
	s_mov_b32 s18, 0x372fe950
	s_mov_b32 s19, 0x3fd3c6ef
	s_delay_alu instid0(VALU_DEP_1) | instskip(SKIP_1) | instid1(VALU_DEP_2)
	v_add_co_u32 v0, vcc_lo, v0, v2
	s_wait_alu 0xfffd
	v_add_co_ci_u32_e32 v1, vcc_lo, v1, v3, vcc_lo
	global_load_b128 v[6:9], v223, s[8:9]
	global_load_b128 v[16:19], v[0:1], off
	v_add_co_u32 v0, vcc_lo, v0, s2
	s_wait_alu 0xfffd
	v_add_co_ci_u32_e32 v1, vcc_lo, s3, v1, vcc_lo
	s_wait_loadcnt 0x1
	v_dual_mov_b32 v31, v9 :: v_dual_mov_b32 v28, v6
	v_mov_b32_e32 v30, v8
	global_load_b128 v[10:13], v223, s[8:9] offset:1296
	global_load_b128 v[20:23], v[0:1], off
	global_load_b128 v[32:35], v223, s[8:9] offset:432
	s_wait_loadcnt 0x3
	v_mul_f64_e32 v[2:3], v[18:19], v[8:9]
	v_mov_b32_e32 v29, v7
	v_add_co_u32 v0, vcc_lo, v0, s2
	s_wait_alu 0xfffd
	v_add_co_ci_u32_e32 v1, vcc_lo, s3, v1, vcc_lo
	global_load_b128 v[36:39], v223, s[8:9] offset:864
	global_load_b128 v[24:27], v[0:1], off
	v_mul_f64_e32 v[4:5], v[16:17], v[8:9]
	v_add_co_u32 v0, vcc_lo, v0, s2
	s_wait_alu 0xfffd
	v_add_co_ci_u32_e32 v1, vcc_lo, s3, v1, vcc_lo
	scratch_store_b128 off, v[28:31], off offset:120 ; 16-byte Folded Spill
	v_fma_f64 v[68:69], v[16:17], v[28:29], v[2:3]
	v_fma_f64 v[70:71], v[18:19], v[28:29], -v[4:5]
	s_wait_loadcnt 0x4
	scratch_store_b128 off, v[10:13], off offset:8 ; 16-byte Folded Spill
	s_wait_loadcnt 0x3
	v_mul_f64_e32 v[6:7], v[22:23], v[12:13]
	v_mul_f64_e32 v[2:3], v[20:21], v[12:13]
	s_delay_alu instid0(VALU_DEP_2) | instskip(NEXT) | instid1(VALU_DEP_2)
	v_fma_f64 v[60:61], v[20:21], v[10:11], v[6:7]
	v_fma_f64 v[62:63], v[22:23], v[10:11], -v[2:3]
	s_clause 0x1
	global_load_b128 v[10:13], v223, s[8:9] offset:2592
	global_load_b128 v[6:9], v223, s[8:9] offset:3024
	s_wait_loadcnt 0x1
	v_mul_f64_e32 v[2:3], v[26:27], v[12:13]
	v_mul_f64_e32 v[4:5], v[24:25], v[12:13]
	scratch_store_b128 off, v[10:13], off offset:24 ; 16-byte Folded Spill
	v_fma_f64 v[64:65], v[24:25], v[10:11], v[2:3]
	v_fma_f64 v[66:67], v[26:27], v[10:11], -v[4:5]
	global_load_b128 v[24:27], v[0:1], off
	global_load_b128 v[14:17], v223, s[8:9] offset:3888
	v_add_co_u32 v2, vcc_lo, v0, s2
	s_wait_alu 0xfffd
	v_add_co_ci_u32_e32 v3, vcc_lo, s3, v1, vcc_lo
	s_wait_loadcnt 0x0
	scratch_store_b128 off, v[14:17], off offset:40 ; 16-byte Folded Spill
	global_load_b128 v[10:13], v223, s[8:9] offset:3456
	global_load_b128 v[28:31], v[2:3], off
	global_load_b128 v[18:21], v223, s[8:9] offset:5184
	v_mul_f64_e32 v[0:1], v[26:27], v[16:17]
	v_mul_f64_e32 v[4:5], v[24:25], v[16:17]
	scratch_store_b128 off, v[32:35], off offset:72 ; 16-byte Folded Spill
	v_fma_f64 v[72:73], v[24:25], v[14:15], v[0:1]
	v_fma_f64 v[74:75], v[26:27], v[14:15], -v[4:5]
	global_load_b128 v[14:17], v223, s[8:9] offset:5616
	s_wait_loadcnt 0x1
	v_mul_f64_e32 v[0:1], v[30:31], v[20:21]
	v_mul_f64_e32 v[4:5], v[28:29], v[20:21]
	scratch_store_b128 off, v[18:21], off offset:56 ; 16-byte Folded Spill
	v_fma_f64 v[76:77], v[28:29], v[18:19], v[0:1]
	v_mad_co_u64_u32 v[0:1], null, 0xffffed70, s12, v[2:3]
	v_fma_f64 v[78:79], v[30:31], v[18:19], -v[4:5]
	s_delay_alu instid0(VALU_DEP_2)
	v_add_nc_u32_e32 v1, s4, v1
	global_load_b128 v[28:31], v[0:1], off
	v_add_co_u32 v0, vcc_lo, v0, s2
	s_wait_alu 0xfffd
	v_add_co_ci_u32_e32 v1, vcc_lo, s3, v1, vcc_lo
	global_load_b128 v[40:43], v[0:1], off
	global_load_b128 v[22:25], v223, s[8:9] offset:1728
	v_add_co_u32 v0, vcc_lo, v0, s2
	s_wait_alu 0xfffd
	v_add_co_ci_u32_e32 v1, vcc_lo, s3, v1, vcc_lo
	global_load_b128 v[18:21], v223, s[8:9] offset:2160
	scratch_store_b128 off, v[6:9], off offset:104 ; 16-byte Folded Spill
	s_wait_loadcnt 0x3
	v_mul_f64_e32 v[2:3], v[30:31], v[34:35]
	v_mul_f64_e32 v[4:5], v[28:29], v[34:35]
	s_wait_loadcnt 0x1
	scratch_store_b128 off, v[22:25], off offset:88 ; 16-byte Folded Spill
	v_fma_f64 v[84:85], v[28:29], v[32:33], v[2:3]
	v_fma_f64 v[86:87], v[30:31], v[32:33], -v[4:5]
	v_mul_f64_e32 v[2:3], v[42:43], v[24:25]
	v_mul_f64_e32 v[4:5], v[40:41], v[24:25]
	s_delay_alu instid0(VALU_DEP_2) | instskip(NEXT) | instid1(VALU_DEP_2)
	v_fma_f64 v[80:81], v[40:41], v[22:23], v[2:3]
	v_fma_f64 v[82:83], v[42:43], v[22:23], -v[4:5]
	global_load_b128 v[40:43], v[0:1], off
	v_add_co_u32 v0, vcc_lo, v0, s2
	s_wait_alu 0xfffd
	v_add_co_ci_u32_e32 v1, vcc_lo, s3, v1, vcc_lo
	global_load_b128 v[56:59], v[0:1], off
	global_load_b128 v[22:25], v223, s[8:9] offset:4320
	v_add_co_u32 v0, vcc_lo, v0, s2
	s_wait_alu 0xfffd
	v_add_co_ci_u32_e32 v1, vcc_lo, s3, v1, vcc_lo
	scratch_store_b128 off, v[36:39], off offset:168 ; 16-byte Folded Spill
	s_wait_loadcnt 0x3
	s_clause 0x1
	scratch_store_b128 off, v[18:21], off offset:184
	scratch_store_b128 off, v[14:17], off offset:152
	s_wait_loadcnt 0x2
	v_mul_f64_e32 v[2:3], v[42:43], v[8:9]
	v_mul_f64_e32 v[4:5], v[40:41], v[8:9]
	s_wait_loadcnt 0x0
	scratch_store_b128 off, v[22:25], off offset:136 ; 16-byte Folded Spill
	v_fma_f64 v[88:89], v[40:41], v[6:7], v[2:3]
	v_fma_f64 v[90:91], v[42:43], v[6:7], -v[4:5]
	v_mul_f64_e32 v[2:3], v[58:59], v[24:25]
	v_mul_f64_e32 v[4:5], v[56:57], v[24:25]
	global_load_b128 v[6:9], v223, s[8:9] offset:4752
	scratch_store_b128 off, v[10:13], off offset:200 ; 16-byte Folded Spill
	v_fma_f64 v[92:93], v[56:57], v[22:23], v[2:3]
	v_fma_f64 v[94:95], v[58:59], v[22:23], -v[4:5]
	global_load_b128 v[56:59], v[0:1], off
	v_mad_co_u64_u32 v[0:1], null, 0xffffed70, s12, v[0:1]
	s_delay_alu instid0(VALU_DEP_1)
	v_add_nc_u32_e32 v1, s4, v1
	s_wait_loadcnt 0x1
	scratch_store_b128 off, v[6:9], off offset:216 ; 16-byte Folded Spill
	s_wait_loadcnt 0x0
	v_mul_f64_e32 v[2:3], v[58:59], v[16:17]
	v_mul_f64_e32 v[4:5], v[56:57], v[16:17]
	s_delay_alu instid0(VALU_DEP_2) | instskip(NEXT) | instid1(VALU_DEP_2)
	v_fma_f64 v[96:97], v[56:57], v[14:15], v[2:3]
	v_fma_f64 v[98:99], v[58:59], v[14:15], -v[4:5]
	global_load_b128 v[56:59], v[0:1], off
	v_add_co_u32 v0, vcc_lo, v0, s2
	s_wait_alu 0xfffd
	v_add_co_ci_u32_e32 v1, vcc_lo, s3, v1, vcc_lo
	s_wait_loadcnt 0x0
	v_mul_f64_e32 v[2:3], v[58:59], v[38:39]
	v_mul_f64_e32 v[4:5], v[56:57], v[38:39]
	s_delay_alu instid0(VALU_DEP_2) | instskip(NEXT) | instid1(VALU_DEP_2)
	v_fma_f64 v[100:101], v[56:57], v[36:37], v[2:3]
	v_fma_f64 v[102:103], v[58:59], v[36:37], -v[4:5]
	global_load_b128 v[56:59], v[0:1], off
	v_add_co_u32 v0, vcc_lo, v0, s2
	s_wait_alu 0xfffd
	v_add_co_ci_u32_e32 v1, vcc_lo, s3, v1, vcc_lo
	;; [unrolled: 10-line block ×4, first 2 shown]
	v_cmp_gt_u16_e64 vcc_lo, 15, v237
	s_wait_loadcnt 0x0
	v_mul_f64_e32 v[2:3], v[58:59], v[8:9]
	v_mul_f64_e32 v[4:5], v[56:57], v[8:9]
	s_delay_alu instid0(VALU_DEP_2) | instskip(NEXT) | instid1(VALU_DEP_2)
	v_fma_f64 v[112:113], v[56:57], v[6:7], v[2:3]
	v_fma_f64 v[114:115], v[58:59], v[6:7], -v[4:5]
	global_load_b128 v[117:120], v[0:1], off
	global_load_b128 v[4:7], v223, s[8:9] offset:6048
	s_wait_loadcnt 0x0
	v_mul_f64_e32 v[0:1], v[119:120], v[6:7]
	v_mul_f64_e32 v[2:3], v[117:118], v[6:7]
	scratch_store_b128 off, v[4:7], off offset:232 ; 16-byte Folded Spill
	v_fma_f64 v[117:118], v[117:118], v[4:5], v[0:1]
	v_fma_f64 v[119:120], v[119:120], v[4:5], -v[2:3]
	v_and_b32_e32 v0, 3, v116
	s_delay_alu instid0(VALU_DEP_1) | instskip(NEXT) | instid1(VALU_DEP_1)
	v_mul_u32_u24_e32 v0, 0x195, v0
	v_lshlrev_b32_e32 v228, 4, v0
	s_delay_alu instid0(VALU_DEP_1)
	v_add_nc_u32_e32 v222, v228, v223
	ds_store_b128 v222, v[68:71]
	ds_store_b128 v222, v[84:87] offset:432
	ds_store_b128 v222, v[64:67] offset:2592
	;; [unrolled: 1-line block ×14, first 2 shown]
	s_load_b128 s[4:7], s[6:7], 0x0
	global_wb scope:SCOPE_SE
	s_wait_storecnt_dscnt 0x0
	s_wait_kmcnt 0x0
	s_barrier_signal -1
	s_barrier_wait -1
	global_inv scope:SCOPE_SE
	ds_load_b128 v[60:63], v222 offset:1296
	ds_load_b128 v[68:71], v222
	ds_load_b128 v[72:75], v222 offset:432
	ds_load_b128 v[76:79], v222 offset:864
	;; [unrolled: 1-line block ×6, first 2 shown]
	s_wait_dscnt 0x6
	v_add_f64_e32 v[0:1], v[68:69], v[60:61]
	v_add_f64_e32 v[2:3], v[70:71], v[62:63]
	s_wait_dscnt 0x3
	v_add_f64_e32 v[4:5], v[60:61], v[64:65]
	v_add_f64_e64 v[6:7], v[62:63], -v[66:67]
	v_add_f64_e32 v[8:9], v[62:63], v[66:67]
	s_wait_dscnt 0x1
	v_add_f64_e64 v[10:11], v[60:61], -v[84:85]
	v_add_f64_e64 v[12:13], v[84:85], -v[60:61]
	;; [unrolled: 1-line block ×5, first 2 shown]
	ds_load_b128 v[60:63], v222 offset:3888
	ds_load_b128 v[92:95], v222 offset:3456
	s_wait_dscnt 0x1
	v_add_f64_e32 v[20:21], v[84:85], v[60:61]
	v_add_f64_e32 v[22:23], v[86:87], v[62:63]
	v_add_f64_e64 v[24:25], v[86:87], -v[62:63]
	v_add_f64_e64 v[26:27], v[84:85], -v[60:61]
	;; [unrolled: 1-line block ×6, first 2 shown]
	v_add_f64_e32 v[0:1], v[0:1], v[84:85]
	v_add_f64_e32 v[2:3], v[2:3], v[86:87]
	v_fma_f64 v[8:9], v[8:9], -0.5, v[70:71]
	v_add_f64_e32 v[10:11], v[10:11], v[28:29]
	v_add_f64_e32 v[16:17], v[16:17], v[32:33]
	;; [unrolled: 1-line block ×4, first 2 shown]
	s_delay_alu instid0(VALU_DEP_2) | instskip(NEXT) | instid1(VALU_DEP_2)
	v_add_f64_e32 v[100:101], v[0:1], v[64:65]
	v_add_f64_e32 v[102:103], v[2:3], v[66:67]
	ds_load_b128 v[60:63], v222 offset:1728
	ds_load_b128 v[64:67], v222 offset:2160
	s_wait_dscnt 0x1
	v_add_f64_e32 v[2:3], v[74:75], v[62:63]
	v_add_f64_e32 v[0:1], v[72:73], v[60:61]
	;; [unrolled: 1-line block ×4, first 2 shown]
	v_add_f64_e64 v[40:41], v[62:63], -v[82:83]
	v_add_f64_e64 v[42:43], v[60:61], -v[88:89]
	;; [unrolled: 1-line block ×6, first 2 shown]
	ds_load_b128 v[60:63], v222 offset:4320
	ds_load_b128 v[84:87], v222 offset:4752
	s_wait_dscnt 0x2
	v_add_f64_e64 v[128:129], v[66:67], -v[94:95]
	v_add_f64_e64 v[130:131], v[94:95], -v[66:67]
	;; [unrolled: 1-line block ×4, first 2 shown]
	s_wait_dscnt 0x1
	v_add_f64_e32 v[54:55], v[90:91], v[62:63]
	v_add_f64_e64 v[56:57], v[90:91], -v[62:63]
	v_add_f64_e64 v[96:97], v[82:83], -v[62:63]
	;; [unrolled: 1-line block ×3, first 2 shown]
	v_add_f64_e32 v[52:53], v[88:89], v[60:61]
	v_add_f64_e64 v[58:59], v[88:89], -v[60:61]
	s_wait_dscnt 0x0
	v_add_f64_e32 v[110:111], v[94:95], v[86:87]
	v_add_f64_e32 v[108:109], v[92:93], v[84:85]
	;; [unrolled: 1-line block ×4, first 2 shown]
	v_add_f64_e64 v[88:89], v[80:81], -v[60:61]
	v_add_f64_e64 v[90:91], v[60:61], -v[80:81]
	v_fma_f64 v[38:39], v[38:39], -0.5, v[74:75]
	v_fma_f64 v[136:137], v[110:111], -0.5, v[78:79]
	v_add_f64_e32 v[2:3], v[2:3], v[62:63]
	v_add_f64_e32 v[0:1], v[0:1], v[60:61]
	s_delay_alu instid0(VALU_DEP_2) | instskip(SKIP_1) | instid1(VALU_DEP_3)
	v_add_f64_e32 v[62:63], v[2:3], v[82:83]
	v_add_f64_e32 v[2:3], v[78:79], v[66:67]
	;; [unrolled: 1-line block ×4, first 2 shown]
	ds_load_b128 v[80:83], v222 offset:6048
	s_wait_dscnt 0x0
	v_add_f64_e32 v[106:107], v[66:67], v[82:83]
	v_add_f64_e64 v[120:121], v[66:67], -v[82:83]
	v_add_f64_e32 v[104:105], v[64:65], v[80:81]
	v_add_f64_e64 v[124:125], v[64:65], -v[80:81]
	v_add_f64_e64 v[132:133], v[80:81], -v[84:85]
	;; [unrolled: 1-line block ×3, first 2 shown]
	v_add_f64_e32 v[2:3], v[2:3], v[94:95]
	v_add_f64_e64 v[94:95], v[94:95], -v[86:87]
	v_add_f64_e32 v[0:1], v[0:1], v[92:93]
	v_add_f64_e64 v[92:93], v[92:93], -v[84:85]
	v_fma_f64 v[138:139], v[106:107], -0.5, v[78:79]
	v_add_f64_e32 v[2:3], v[2:3], v[86:87]
	v_add_f64_e64 v[86:87], v[86:87], -v[82:83]
	v_add_f64_e32 v[0:1], v[0:1], v[84:85]
	v_add_f64_e64 v[84:85], v[84:85], -v[80:81]
	s_delay_alu instid0(VALU_DEP_4)
	v_add_f64_e32 v[66:67], v[2:3], v[82:83]
	v_fma_f64 v[2:3], v[4:5], -0.5, v[68:69]
	v_fma_f64 v[4:5], v[22:23], -0.5, v[70:71]
	v_add_f64_e32 v[64:65], v[0:1], v[80:81]
	v_fma_f64 v[0:1], v[20:21], -0.5, v[68:69]
	v_fma_f64 v[20:21], v[52:53], -0.5, v[72:73]
	;; [unrolled: 1-line block ×6, first 2 shown]
	v_fma_f64 v[32:33], v[14:15], s[22:23], v[4:5]
	v_fma_f64 v[4:5], v[14:15], s[20:21], v[4:5]
	;; [unrolled: 1-line block ×4, first 2 shown]
	s_delay_alu instid0(VALU_DEP_4) | instskip(NEXT) | instid1(VALU_DEP_4)
	v_fma_f64 v[32:33], v[26:27], s[16:17], v[32:33]
	v_fma_f64 v[4:5], v[26:27], s[14:15], v[4:5]
	s_delay_alu instid0(VALU_DEP_4) | instskip(NEXT) | instid1(VALU_DEP_4)
	v_fma_f64 v[28:29], v[24:25], s[14:15], v[28:29]
	v_fma_f64 v[0:1], v[24:25], s[16:17], v[0:1]
	;; [unrolled: 3-line block ×3, first 2 shown]
	v_fma_f64 v[4:5], v[26:27], s[20:21], v[8:9]
	s_delay_alu instid0(VALU_DEP_4)
	v_fma_f64 v[108:109], v[10:11], s[18:19], v[0:1]
	v_fma_f64 v[0:1], v[24:25], s[22:23], v[2:3]
	;; [unrolled: 1-line block ×5, first 2 shown]
	v_add_f64_e32 v[10:11], v[12:13], v[30:31]
	v_add_f64_e32 v[12:13], v[18:19], v[34:35]
	v_fma_f64 v[4:5], v[14:15], s[16:17], v[4:5]
	v_fma_f64 v[0:1], v[6:7], s[14:15], v[0:1]
	;; [unrolled: 1-line block ×4, first 2 shown]
	v_add_f64_e32 v[8:9], v[44:45], v[90:91]
	v_fma_f64 v[114:115], v[12:13], s[18:19], v[4:5]
	v_fma_f64 v[4:5], v[40:41], s[20:21], v[20:21]
	;; [unrolled: 1-line block ×3, first 2 shown]
	v_add_f64_e32 v[0:1], v[42:43], v[88:89]
	v_fma_f64 v[118:119], v[12:13], s[18:19], v[6:7]
	v_fma_f64 v[6:7], v[46:47], s[22:23], v[36:37]
	;; [unrolled: 1-line block ×3, first 2 shown]
	v_add_f64_e32 v[2:3], v[48:49], v[96:97]
	v_add_f64_e32 v[10:11], v[50:51], v[98:99]
	v_fma_f64 v[4:5], v[56:57], s[14:15], v[4:5]
	v_fma_f64 v[6:7], v[58:59], s[16:17], v[6:7]
	s_delay_alu instid0(VALU_DEP_2) | instskip(SKIP_1) | instid1(VALU_DEP_3)
	v_fma_f64 v[68:69], v[0:1], s[18:19], v[4:5]
	v_fma_f64 v[4:5], v[40:41], s[22:23], v[20:21]
	;; [unrolled: 1-line block ×4, first 2 shown]
	s_delay_alu instid0(VALU_DEP_3) | instskip(NEXT) | instid1(VALU_DEP_2)
	v_fma_f64 v[4:5], v[56:57], s[16:17], v[4:5]
	v_fma_f64 v[6:7], v[58:59], s[14:15], v[6:7]
	s_delay_alu instid0(VALU_DEP_2) | instskip(SKIP_2) | instid1(VALU_DEP_4)
	v_fma_f64 v[72:73], v[0:1], s[18:19], v[4:5]
	v_fma_f64 v[4:5], v[58:59], s[20:21], v[38:39]
	;; [unrolled: 1-line block ×8, first 2 shown]
	s_delay_alu instid0(VALU_DEP_4) | instskip(NEXT) | instid1(VALU_DEP_4)
	v_fma_f64 v[6:7], v[46:47], s[14:15], v[6:7]
	v_fma_f64 v[2:3], v[40:41], s[16:17], v[2:3]
	s_delay_alu instid0(VALU_DEP_4)
	v_fma_f64 v[78:79], v[10:11], s[18:19], v[4:5]
	v_fma_f64 v[4:5], v[94:95], s[22:23], v[54:55]
	;; [unrolled: 1-line block ×3, first 2 shown]
	v_add_f64_e32 v[0:1], v[126:127], v[84:85]
	v_fma_f64 v[82:83], v[10:11], s[18:19], v[6:7]
	v_fma_f64 v[6:7], v[92:93], s[20:21], v[138:139]
	;; [unrolled: 1-line block ×3, first 2 shown]
	v_add_f64_e32 v[2:3], v[130:131], v[86:87]
	v_add_f64_e32 v[8:9], v[122:123], v[132:133]
	v_add_f64_e32 v[10:11], v[128:129], v[134:135]
	v_fma_f64 v[4:5], v[120:121], s[14:15], v[4:5]
	v_fma_f64 v[6:7], v[124:125], s[16:17], v[6:7]
	s_delay_alu instid0(VALU_DEP_2) | instskip(SKIP_1) | instid1(VALU_DEP_3)
	v_fma_f64 v[84:85], v[0:1], s[18:19], v[4:5]
	v_fma_f64 v[4:5], v[94:95], s[20:21], v[54:55]
	;; [unrolled: 1-line block ×4, first 2 shown]
	s_delay_alu instid0(VALU_DEP_3) | instskip(NEXT) | instid1(VALU_DEP_2)
	v_fma_f64 v[4:5], v[120:121], s[16:17], v[4:5]
	v_fma_f64 v[6:7], v[124:125], s[14:15], v[6:7]
	s_delay_alu instid0(VALU_DEP_2) | instskip(SKIP_2) | instid1(VALU_DEP_4)
	v_fma_f64 v[88:89], v[0:1], s[18:19], v[4:5]
	v_fma_f64 v[0:1], v[120:121], s[20:21], v[52:53]
	;; [unrolled: 1-line block ×8, first 2 shown]
	s_delay_alu instid0(VALU_DEP_4) | instskip(NEXT) | instid1(VALU_DEP_4)
	v_fma_f64 v[2:3], v[94:95], s[16:17], v[2:3]
	v_fma_f64 v[6:7], v[92:93], s[14:15], v[6:7]
	s_delay_alu instid0(VALU_DEP_4) | instskip(SKIP_4) | instid1(VALU_DEP_4)
	v_fma_f64 v[96:97], v[8:9], s[18:19], v[0:1]
	v_mul_lo_u16 v0, v237, 5
	v_fma_f64 v[98:99], v[10:11], s[18:19], v[4:5]
	v_fma_f64 v[92:93], v[8:9], s[18:19], v[2:3]
	;; [unrolled: 1-line block ×3, first 2 shown]
	v_and_b32_e32 v0, 0xffff, v0
	s_delay_alu instid0(VALU_DEP_1)
	v_lshl_add_u32 v0, v0, 4, v228
	scratch_store_b32 off, v0, off offset:248 ; 4-byte Folded Spill
	global_wb scope:SCOPE_SE
	s_wait_storecnt 0x0
	s_barrier_signal -1
	s_barrier_wait -1
	global_inv scope:SCOPE_SE
	ds_store_b128 v0, v[100:103]
	ds_store_b128 v0, v[104:107] offset:16
	ds_store_b128 v0, v[112:115] offset:32
	;; [unrolled: 1-line block ×4, first 2 shown]
	v_add_co_u32 v100, s2, v140, 27
	v_add_co_u32 v101, null, v140, 54
	s_wait_alu 0xf1ff
	v_add_co_ci_u32_e64 v103, null, 0, 0, s2
	s_delay_alu instid0(VALU_DEP_3) | instskip(SKIP_3) | instid1(VALU_DEP_4)
	v_mul_u32_u24_e32 v0, 5, v100
	v_and_b32_e32 v50, 0xff, v100
	v_and_b32_e32 v53, 0xff, v101
	v_add_co_u32 v102, null, 0x6c, v140
	v_lshl_add_u32 v220, v0, 4, v228
	v_mul_u32_u24_e32 v0, 5, v101
	ds_store_b128 v220, v[60:63]
	ds_store_b128 v220, v[68:71] offset:16
	ds_store_b128 v220, v[76:79] offset:32
	;; [unrolled: 1-line block ×4, first 2 shown]
	v_lshl_add_u32 v221, v0, 4, v228
	v_and_b32_e32 v0, 0xff, v237
	ds_store_b128 v221, v[64:67]
	ds_store_b128 v221, v[96:99] offset:16
	ds_store_b128 v221, v[84:87] offset:32
	;; [unrolled: 1-line block ×4, first 2 shown]
	v_mul_lo_u16 v0, 0xcd, v0
	global_wb scope:SCOPE_SE
	s_wait_dscnt 0x0
	s_barrier_signal -1
	s_barrier_wait -1
	global_inv scope:SCOPE_SE
	v_lshrrev_b16 v48, 10, v0
	v_mul_lo_u16 v8, 0xcd, v50
	v_mul_lo_u16 v16, 0xcd, v53
	v_add_co_u32 v88, null, 0x51, v140
	s_delay_alu instid0(VALU_DEP_4) | instskip(NEXT) | instid1(VALU_DEP_4)
	v_mul_lo_u16 v0, v48, 5
	v_lshrrev_b16 v51, 10, v8
	s_delay_alu instid0(VALU_DEP_4)
	v_lshrrev_b16 v54, 10, v16
	s_mov_b32 s2, 0xe8584caa
	s_mov_b32 s3, 0x3febb67a
	v_sub_nc_u16 v49, v237, v0
	v_mul_lo_u16 v8, v51, 5
	v_mul_lo_u16 v16, v54, 5
	s_wait_alu 0xfffe
	s_mov_b32 s12, s2
	v_lshlrev_b16 v0, 1, v49
	v_sub_nc_u16 v8, v100, v8
	v_sub_nc_u16 v16, v101, v16
	s_delay_alu instid0(VALU_DEP_3) | instskip(NEXT) | instid1(VALU_DEP_3)
	v_and_b32_e32 v0, 0xfe, v0
	v_and_b32_e32 v52, 0xff, v8
	s_delay_alu instid0(VALU_DEP_3) | instskip(NEXT) | instid1(VALU_DEP_3)
	v_and_b32_e32 v55, 0xff, v16
	v_lshlrev_b32_e32 v0, 4, v0
	s_clause 0x1
	global_load_b128 v[184:187], v0, s[10:11]
	global_load_b128 v[180:183], v0, s[10:11] offset:16
	ds_load_b128 v[60:63], v222 offset:2160
	ds_load_b128 v[64:67], v222 offset:1728
	v_lshlrev_b32_e32 v8, 5, v52
	v_lshlrev_b32_e32 v16, 5, v55
	s_wait_loadcnt_dscnt 0x101
	v_mul_f64_e32 v[0:1], v[62:63], v[186:187]
	v_mul_f64_e32 v[2:3], v[60:61], v[186:187]
	s_delay_alu instid0(VALU_DEP_2) | instskip(NEXT) | instid1(VALU_DEP_2)
	v_fma_f64 v[0:1], v[60:61], v[184:185], -v[0:1]
	v_fma_f64 v[2:3], v[62:63], v[184:185], v[2:3]
	ds_load_b128 v[60:63], v222 offset:4320
	ds_load_b128 v[68:71], v222 offset:4752
	s_clause 0x1
	global_load_b128 v[192:195], v8, s[10:11]
	global_load_b128 v[188:191], v8, s[10:11] offset:16
	s_wait_loadcnt_dscnt 0x201
	v_mul_f64_e32 v[4:5], v[62:63], v[182:183]
	v_mul_f64_e32 v[6:7], v[60:61], v[182:183]
	s_delay_alu instid0(VALU_DEP_2) | instskip(NEXT) | instid1(VALU_DEP_2)
	v_fma_f64 v[4:5], v[60:61], v[180:181], -v[4:5]
	v_fma_f64 v[6:7], v[62:63], v[180:181], v[6:7]
	ds_load_b128 v[60:63], v222 offset:2592
	ds_load_b128 v[72:75], v222 offset:3024
	s_clause 0x1
	global_load_b128 v[200:203], v16, s[10:11]
	global_load_b128 v[196:199], v16, s[10:11] offset:16
	v_add_f64_e32 v[40:41], v[0:1], v[4:5]
	v_add_f64_e32 v[42:43], v[2:3], v[6:7]
	s_wait_loadcnt_dscnt 0x301
	v_mul_f64_e32 v[8:9], v[62:63], v[194:195]
	v_mul_f64_e32 v[10:11], v[60:61], v[194:195]
	s_wait_loadcnt 0x2
	v_mul_f64_e32 v[12:13], v[70:71], v[190:191]
	v_mul_f64_e32 v[14:15], v[68:69], v[190:191]
	s_delay_alu instid0(VALU_DEP_4) | instskip(NEXT) | instid1(VALU_DEP_4)
	v_fma_f64 v[8:9], v[60:61], v[192:193], -v[8:9]
	v_fma_f64 v[10:11], v[62:63], v[192:193], v[10:11]
	s_delay_alu instid0(VALU_DEP_4) | instskip(NEXT) | instid1(VALU_DEP_4)
	v_fma_f64 v[12:13], v[68:69], v[188:189], -v[12:13]
	v_fma_f64 v[14:15], v[70:71], v[188:189], v[14:15]
	ds_load_b128 v[60:63], v222 offset:5184
	ds_load_b128 v[68:71], v222 offset:5616
	s_wait_loadcnt_dscnt 0x102
	v_mul_f64_e32 v[16:17], v[74:75], v[202:203]
	v_mul_f64_e32 v[18:19], v[72:73], v[202:203]
	s_wait_loadcnt_dscnt 0x1
	v_mul_f64_e32 v[20:21], v[62:63], v[198:199]
	v_mul_f64_e32 v[22:23], v[60:61], v[198:199]
	s_delay_alu instid0(VALU_DEP_4) | instskip(NEXT) | instid1(VALU_DEP_4)
	v_fma_f64 v[16:17], v[72:73], v[200:201], -v[16:17]
	v_fma_f64 v[18:19], v[74:75], v[200:201], v[18:19]
	s_delay_alu instid0(VALU_DEP_4) | instskip(SKIP_3) | instid1(VALU_DEP_3)
	v_fma_f64 v[20:21], v[60:61], v[196:197], -v[20:21]
	v_and_b32_e32 v61, 0xff, v88
	v_and_b32_e32 v60, 0xff, v102
	v_fma_f64 v[22:23], v[62:63], v[196:197], v[22:23]
	v_mul_lo_u16 v24, 0xcd, v61
	s_delay_alu instid0(VALU_DEP_3) | instskip(NEXT) | instid1(VALU_DEP_2)
	v_mul_lo_u16 v32, 0xcd, v60
	v_lshrrev_b16 v56, 10, v24
	s_delay_alu instid0(VALU_DEP_2) | instskip(NEXT) | instid1(VALU_DEP_2)
	v_lshrrev_b16 v58, 10, v32
	v_mul_lo_u16 v24, v56, 5
	s_delay_alu instid0(VALU_DEP_2) | instskip(NEXT) | instid1(VALU_DEP_2)
	v_mul_lo_u16 v32, v58, 5
	v_sub_nc_u16 v24, v88, v24
	s_delay_alu instid0(VALU_DEP_2) | instskip(NEXT) | instid1(VALU_DEP_2)
	v_sub_nc_u16 v32, v102, v32
	v_and_b32_e32 v57, 0xff, v24
	s_delay_alu instid0(VALU_DEP_2) | instskip(NEXT) | instid1(VALU_DEP_2)
	v_and_b32_e32 v59, 0xff, v32
	v_lshlrev_b32_e32 v24, 5, v57
	s_clause 0x1
	global_load_b128 v[208:211], v24, s[10:11]
	global_load_b128 v[204:207], v24, s[10:11] offset:16
	v_lshlrev_b32_e32 v32, 5, v59
	ds_load_b128 v[72:75], v222 offset:3456
	ds_load_b128 v[76:79], v222 offset:3888
	s_clause 0x1
	global_load_b128 v[216:219], v32, s[10:11]
	global_load_b128 v[212:215], v32, s[10:11] offset:16
	s_wait_loadcnt_dscnt 0x301
	v_mul_f64_e32 v[24:25], v[74:75], v[210:211]
	s_wait_loadcnt 0x2
	v_mul_f64_e32 v[28:29], v[70:71], v[206:207]
	v_mul_f64_e32 v[30:31], v[68:69], v[206:207]
	;; [unrolled: 1-line block ×3, first 2 shown]
	s_wait_loadcnt_dscnt 0x100
	v_mul_f64_e32 v[34:35], v[76:77], v[218:219]
	v_mul_f64_e32 v[32:33], v[78:79], v[218:219]
	v_fma_f64 v[24:25], v[72:73], v[208:209], -v[24:25]
	v_fma_f64 v[28:29], v[68:69], v[204:205], -v[28:29]
	v_fma_f64 v[30:31], v[70:71], v[204:205], v[30:31]
	ds_load_b128 v[68:71], v222 offset:6048
	v_fma_f64 v[26:27], v[74:75], v[208:209], v[26:27]
	v_fma_f64 v[34:35], v[78:79], v[216:217], v[34:35]
	v_fma_f64 v[32:33], v[76:77], v[216:217], -v[32:33]
	s_wait_loadcnt_dscnt 0x0
	v_mul_f64_e32 v[36:37], v[70:71], v[214:215]
	v_mul_f64_e32 v[38:39], v[68:69], v[214:215]
	s_delay_alu instid0(VALU_DEP_2) | instskip(NEXT) | instid1(VALU_DEP_2)
	v_fma_f64 v[36:37], v[68:69], v[212:213], -v[36:37]
	v_fma_f64 v[38:39], v[70:71], v[212:213], v[38:39]
	ds_load_b128 v[68:71], v222
	ds_load_b128 v[72:75], v222 offset:432
	ds_load_b128 v[93:96], v222 offset:864
	;; [unrolled: 1-line block ×3, first 2 shown]
	global_wb scope:SCOPE_SE
	s_wait_dscnt 0x0
	s_barrier_signal -1
	s_barrier_wait -1
	global_inv scope:SCOPE_SE
	v_fma_f64 v[42:43], v[42:43], -0.5, v[70:71]
	v_add_f64_e32 v[46:47], v[68:69], v[0:1]
	v_add_f64_e64 v[0:1], v[0:1], -v[4:5]
	v_fma_f64 v[40:41], v[40:41], -0.5, v[68:69]
	v_add_f64_e32 v[44:45], v[70:71], v[2:3]
	v_add_f64_e64 v[2:3], v[2:3], -v[6:7]
	v_add_f64_e32 v[68:69], v[46:47], v[4:5]
	s_wait_alu 0xfffe
	v_fma_f64 v[78:79], v[0:1], s[12:13], v[42:43]
	v_fma_f64 v[82:83], v[0:1], s[2:3], v[42:43]
	v_add_f64_e32 v[0:1], v[8:9], v[12:13]
	v_fma_f64 v[76:77], v[2:3], s[2:3], v[40:41]
	v_fma_f64 v[80:81], v[2:3], s[12:13], v[40:41]
	v_add_f64_e32 v[2:3], v[10:11], v[14:15]
	v_add_f64_e32 v[4:5], v[74:75], v[10:11]
	v_add_f64_e64 v[10:11], v[10:11], -v[14:15]
	v_add_f64_e32 v[70:71], v[44:45], v[6:7]
	v_add_f64_e32 v[6:7], v[72:73], v[8:9]
	v_fma_f64 v[0:1], v[0:1], -0.5, v[72:73]
	v_fma_f64 v[2:3], v[2:3], -0.5, v[74:75]
	v_add_f64_e32 v[74:75], v[4:5], v[14:15]
	v_add_f64_e64 v[4:5], v[8:9], -v[12:13]
	v_add_f64_e64 v[8:9], v[18:19], -v[22:23]
	v_add_f64_e32 v[72:73], v[6:7], v[12:13]
	v_add_f64_e32 v[6:7], v[93:94], v[16:17]
	v_fma_f64 v[84:85], v[10:11], s[2:3], v[0:1]
	v_fma_f64 v[89:90], v[10:11], s[12:13], v[0:1]
	v_add_f64_e32 v[0:1], v[16:17], v[20:21]
	v_fma_f64 v[86:87], v[4:5], s[12:13], v[2:3]
	v_fma_f64 v[91:92], v[4:5], s[2:3], v[2:3]
	v_add_f64_e32 v[2:3], v[18:19], v[22:23]
	v_add_f64_e32 v[4:5], v[95:96], v[18:19]
	v_fma_f64 v[0:1], v[0:1], -0.5, v[93:94]
	v_add_f64_e32 v[93:94], v[6:7], v[20:21]
	v_add_f64_e32 v[6:7], v[104:105], v[24:25]
	v_fma_f64 v[2:3], v[2:3], -0.5, v[95:96]
	v_add_f64_e32 v[95:96], v[4:5], v[22:23]
	v_add_f64_e64 v[4:5], v[16:17], -v[20:21]
	v_mul_lo_u16 v17, 0x89, v53
	v_fma_f64 v[108:109], v[8:9], s[2:3], v[0:1]
	v_fma_f64 v[112:113], v[8:9], s[12:13], v[0:1]
	v_add_f64_e32 v[0:1], v[24:25], v[28:29]
	v_add_f64_e64 v[8:9], v[26:27], -v[30:31]
	v_fma_f64 v[110:111], v[4:5], s[12:13], v[2:3]
	v_fma_f64 v[114:115], v[4:5], s[2:3], v[2:3]
	v_add_f64_e32 v[2:3], v[26:27], v[30:31]
	v_add_f64_e32 v[4:5], v[106:107], v[26:27]
	v_fma_f64 v[0:1], v[0:1], -0.5, v[104:105]
	v_add_f64_e32 v[104:105], v[6:7], v[28:29]
	v_add_f64_e32 v[6:7], v[64:65], v[32:33]
	v_fma_f64 v[2:3], v[2:3], -0.5, v[106:107]
	v_add_f64_e32 v[106:107], v[4:5], v[30:31]
	v_add_f64_e64 v[4:5], v[24:25], -v[28:29]
	v_mul_lo_u16 v25, 0x89, v61
	s_delay_alu instid0(VALU_DEP_1) | instskip(NEXT) | instid1(VALU_DEP_1)
	v_lshrrev_b16 v53, 11, v25
	v_mul_lo_u16 v25, v53, 15
	s_delay_alu instid0(VALU_DEP_1)
	v_sub_nc_u16 v25, v88, v25
	v_fma_f64 v[116:117], v[8:9], s[2:3], v[0:1]
	v_fma_f64 v[120:121], v[8:9], s[12:13], v[0:1]
	v_add_f64_e32 v[0:1], v[32:33], v[36:37]
	v_add_f64_e64 v[8:9], v[34:35], -v[38:39]
	v_add_f64_e32 v[62:63], v[6:7], v[36:37]
	v_fma_f64 v[118:119], v[4:5], s[12:13], v[2:3]
	v_fma_f64 v[122:123], v[4:5], s[2:3], v[2:3]
	v_add_f64_e32 v[2:3], v[34:35], v[38:39]
	v_add_f64_e32 v[4:5], v[66:67], v[34:35]
	v_fma_f64 v[0:1], v[0:1], -0.5, v[64:65]
	s_delay_alu instid0(VALU_DEP_3) | instskip(NEXT) | instid1(VALU_DEP_3)
	v_fma_f64 v[2:3], v[2:3], -0.5, v[66:67]
	v_add_f64_e32 v[64:65], v[4:5], v[38:39]
	v_add_f64_e64 v[4:5], v[32:33], -v[36:37]
	v_mul_lo_u16 v33, 0x89, v60
	v_fma_f64 v[124:125], v[8:9], s[2:3], v[0:1]
	v_fma_f64 v[128:129], v[8:9], s[12:13], v[0:1]
	v_mad_u16 v0, v48, 15, v49
	v_mul_lo_u16 v9, 0x89, v50
	s_delay_alu instid0(VALU_DEP_2) | instskip(NEXT) | instid1(VALU_DEP_2)
	v_and_b32_e32 v0, 0xff, v0
	v_lshrrev_b16 v49, 11, v9
	v_fma_f64 v[126:127], v[4:5], s[12:13], v[2:3]
	s_delay_alu instid0(VALU_DEP_3)
	v_lshl_add_u32 v255, v0, 4, v228
	v_mul_lo_u16 v0, v51, 15
	ds_store_b128 v255, v[68:71]
	ds_store_b128 v255, v[76:79] offset:80
	ds_store_b128 v255, v[80:83] offset:160
	v_and_b32_e32 v0, 0xff, v0
	v_fma_f64 v[130:131], v[4:5], s[2:3], v[2:3]
	v_mul_lo_u16 v9, v49, 15
	v_lshrrev_b16 v51, 11, v17
	s_delay_alu instid0(VALU_DEP_4) | instskip(NEXT) | instid1(VALU_DEP_3)
	v_add_nc_u32_e32 v0, v0, v52
	v_sub_nc_u16 v9, v100, v9
	s_delay_alu instid0(VALU_DEP_3) | instskip(NEXT) | instid1(VALU_DEP_3)
	v_mul_lo_u16 v17, v51, 15
	v_lshl_add_u32 v0, v0, 4, v228
	s_delay_alu instid0(VALU_DEP_3) | instskip(NEXT) | instid1(VALU_DEP_3)
	v_and_b32_e32 v50, 0xff, v9
	v_sub_nc_u16 v17, v101, v17
	scratch_store_b32 off, v0, off offset:464 ; 4-byte Folded Spill
	ds_store_b128 v0, v[72:75]
	ds_store_b128 v0, v[84:87] offset:80
	ds_store_b128 v0, v[89:92] offset:160
	v_and_b32_e32 v0, 0xffff, v54
	v_lshlrev_b32_e32 v9, 5, v50
	v_and_b32_e32 v52, 0xff, v17
	v_and_b32_e32 v54, 0xff, v25
	s_delay_alu instid0(VALU_DEP_4) | instskip(NEXT) | instid1(VALU_DEP_3)
	v_mul_u32_u24_e32 v0, 15, v0
	v_lshlrev_b32_e32 v17, 5, v52
	s_delay_alu instid0(VALU_DEP_3) | instskip(NEXT) | instid1(VALU_DEP_3)
	v_lshlrev_b32_e32 v25, 5, v54
	v_add_nc_u32_e32 v0, v0, v55
	v_lshrrev_b16 v55, 11, v33
	s_delay_alu instid0(VALU_DEP_2) | instskip(NEXT) | instid1(VALU_DEP_2)
	v_lshl_add_u32 v0, v0, 4, v228
	v_mul_lo_u16 v33, v55, 15
	scratch_store_b32 off, v0, off offset:460 ; 4-byte Folded Spill
	ds_store_b128 v0, v[93:96]
	ds_store_b128 v0, v[108:111] offset:80
	ds_store_b128 v0, v[112:115] offset:160
	v_and_b32_e32 v0, 0xffff, v56
	v_sub_nc_u16 v33, v102, v33
	s_delay_alu instid0(VALU_DEP_2) | instskip(NEXT) | instid1(VALU_DEP_2)
	v_mul_u32_u24_e32 v0, 15, v0
	v_and_b32_e32 v56, 0xff, v33
	s_delay_alu instid0(VALU_DEP_2) | instskip(SKIP_1) | instid1(VALU_DEP_3)
	v_add_nc_u32_e32 v0, v0, v57
	v_mov_b32_e32 v57, v140
	v_lshlrev_b32_e32 v33, 5, v56
	s_delay_alu instid0(VALU_DEP_3) | instskip(NEXT) | instid1(VALU_DEP_3)
	v_lshl_add_u32 v0, v0, 4, v228
	v_lshlrev_b32_e32 v97, 5, v57
	scratch_store_b32 off, v0, off offset:456 ; 4-byte Folded Spill
	ds_store_b128 v0, v[104:107]
	ds_store_b128 v0, v[116:119] offset:80
	ds_store_b128 v0, v[120:123] offset:160
	v_and_b32_e32 v0, 0xffff, v58
	s_delay_alu instid0(VALU_DEP_1) | instskip(NEXT) | instid1(VALU_DEP_1)
	v_mul_u32_u24_e32 v0, 15, v0
	v_add_nc_u32_e32 v0, v0, v59
	s_delay_alu instid0(VALU_DEP_1)
	v_lshl_add_u32 v0, v0, 4, v228
	scratch_store_b32 off, v0, off offset:452 ; 4-byte Folded Spill
	ds_store_b128 v0, v[62:65]
	ds_store_b128 v0, v[124:127] offset:80
	ds_store_b128 v0, v[128:131] offset:160
	v_add_co_u32 v0, s24, v140, -15
	s_delay_alu instid0(VALU_DEP_1)
	v_add_co_ci_u32_e64 v1, null, 0, -1, s24
	global_wb scope:SCOPE_SE
	s_wait_storecnt_dscnt 0x0
	v_cndmask_b32_e32 v0, v0, v140, vcc_lo
	s_barrier_signal -1
	v_cndmask_b32_e64 v1, v1, 0, vcc_lo
	s_barrier_wait -1
	global_inv scope:SCOPE_SE
	v_lshlrev_b64_e32 v[1:2], 5, v[0:1]
	s_delay_alu instid0(VALU_DEP_1) | instskip(SKIP_1) | instid1(VALU_DEP_2)
	v_add_co_u32 v1, vcc_lo, s10, v1
	s_wait_alu 0xfffd
	v_add_co_ci_u32_e32 v2, vcc_lo, s11, v2, vcc_lo
	s_clause 0x1
	global_load_b128 v[144:147], v[1:2], off offset:160
	global_load_b128 v[140:143], v[1:2], off offset:176
	ds_load_b128 v[62:65], v222 offset:2160
	ds_load_b128 v[66:69], v222 offset:1728
	v_cmp_lt_u16_e64 vcc_lo, 14, v237
	s_wait_loadcnt_dscnt 0x101
	v_mul_f64_e32 v[1:2], v[64:65], v[146:147]
	v_mul_f64_e32 v[3:4], v[62:63], v[146:147]
	s_delay_alu instid0(VALU_DEP_2) | instskip(NEXT) | instid1(VALU_DEP_2)
	v_fma_f64 v[1:2], v[62:63], v[144:145], -v[1:2]
	v_fma_f64 v[3:4], v[64:65], v[144:145], v[3:4]
	ds_load_b128 v[62:65], v222 offset:4320
	ds_load_b128 v[70:73], v222 offset:4752
	s_clause 0x1
	global_load_b128 v[152:155], v9, s[10:11] offset:160
	global_load_b128 v[148:151], v9, s[10:11] offset:176
	s_wait_loadcnt_dscnt 0x201
	v_mul_f64_e32 v[5:6], v[64:65], v[142:143]
	v_mul_f64_e32 v[7:8], v[62:63], v[142:143]
	s_delay_alu instid0(VALU_DEP_2) | instskip(NEXT) | instid1(VALU_DEP_2)
	v_fma_f64 v[5:6], v[62:63], v[140:141], -v[5:6]
	v_fma_f64 v[7:8], v[64:65], v[140:141], v[7:8]
	ds_load_b128 v[62:65], v222 offset:2592
	ds_load_b128 v[74:77], v222 offset:3024
	s_clause 0x1
	global_load_b128 v[160:163], v17, s[10:11] offset:160
	global_load_b128 v[156:159], v17, s[10:11] offset:176
	v_add_f64_e32 v[41:42], v[1:2], v[5:6]
	v_add_f64_e32 v[43:44], v[3:4], v[7:8]
	s_wait_loadcnt_dscnt 0x301
	v_mul_f64_e32 v[9:10], v[64:65], v[154:155]
	v_mul_f64_e32 v[11:12], v[62:63], v[154:155]
	s_wait_loadcnt 0x2
	v_mul_f64_e32 v[13:14], v[72:73], v[150:151]
	v_mul_f64_e32 v[15:16], v[70:71], v[150:151]
	s_delay_alu instid0(VALU_DEP_4) | instskip(NEXT) | instid1(VALU_DEP_4)
	v_fma_f64 v[9:10], v[62:63], v[152:153], -v[9:10]
	v_fma_f64 v[11:12], v[64:65], v[152:153], v[11:12]
	s_delay_alu instid0(VALU_DEP_4) | instskip(NEXT) | instid1(VALU_DEP_4)
	v_fma_f64 v[13:14], v[70:71], v[148:149], -v[13:14]
	v_fma_f64 v[15:16], v[72:73], v[148:149], v[15:16]
	ds_load_b128 v[62:65], v222 offset:5184
	ds_load_b128 v[70:73], v222 offset:5616
	s_clause 0x1
	global_load_b128 v[168:171], v25, s[10:11] offset:160
	global_load_b128 v[164:167], v25, s[10:11] offset:176
	s_wait_loadcnt_dscnt 0x302
	v_mul_f64_e32 v[17:18], v[76:77], v[162:163]
	v_mul_f64_e32 v[19:20], v[74:75], v[162:163]
	s_wait_loadcnt_dscnt 0x201
	v_mul_f64_e32 v[21:22], v[64:65], v[158:159]
	v_mul_f64_e32 v[23:24], v[62:63], v[158:159]
	s_delay_alu instid0(VALU_DEP_4) | instskip(NEXT) | instid1(VALU_DEP_4)
	v_fma_f64 v[17:18], v[74:75], v[160:161], -v[17:18]
	v_fma_f64 v[19:20], v[76:77], v[160:161], v[19:20]
	s_delay_alu instid0(VALU_DEP_4) | instskip(NEXT) | instid1(VALU_DEP_4)
	v_fma_f64 v[21:22], v[62:63], v[156:157], -v[21:22]
	v_fma_f64 v[23:24], v[64:65], v[156:157], v[23:24]
	ds_load_b128 v[62:65], v222 offset:3456
	ds_load_b128 v[74:77], v222 offset:3888
	s_clause 0x1
	global_load_b128 v[176:179], v33, s[10:11] offset:160
	global_load_b128 v[172:175], v33, s[10:11] offset:176
	s_wait_loadcnt_dscnt 0x301
	v_mul_f64_e32 v[25:26], v[64:65], v[170:171]
	v_mul_f64_e32 v[27:28], v[62:63], v[170:171]
	s_wait_loadcnt 0x2
	v_mul_f64_e32 v[29:30], v[72:73], v[166:167]
	v_mul_f64_e32 v[31:32], v[70:71], v[166:167]
	s_delay_alu instid0(VALU_DEP_4) | instskip(NEXT) | instid1(VALU_DEP_4)
	v_fma_f64 v[25:26], v[62:63], v[168:169], -v[25:26]
	v_fma_f64 v[27:28], v[64:65], v[168:169], v[27:28]
	ds_load_b128 v[62:65], v222 offset:6048
	v_fma_f64 v[29:30], v[70:71], v[164:165], -v[29:30]
	v_fma_f64 v[31:32], v[72:73], v[164:165], v[31:32]
	s_wait_loadcnt_dscnt 0x101
	v_mul_f64_e32 v[35:36], v[74:75], v[178:179]
	s_wait_loadcnt_dscnt 0x0
	v_mul_f64_e32 v[37:38], v[64:65], v[174:175]
	v_mul_f64_e32 v[39:40], v[62:63], v[174:175]
	;; [unrolled: 1-line block ×3, first 2 shown]
	s_delay_alu instid0(VALU_DEP_4) | instskip(NEXT) | instid1(VALU_DEP_4)
	v_fma_f64 v[35:36], v[76:77], v[176:177], v[35:36]
	v_fma_f64 v[37:38], v[62:63], v[172:173], -v[37:38]
	s_delay_alu instid0(VALU_DEP_4)
	v_fma_f64 v[39:40], v[64:65], v[172:173], v[39:40]
	ds_load_b128 v[62:65], v222
	ds_load_b128 v[70:73], v222 offset:432
	v_fma_f64 v[33:34], v[74:75], v[176:177], -v[33:34]
	ds_load_b128 v[93:96], v222 offset:864
	ds_load_b128 v[104:107], v222 offset:1296
	s_wait_dscnt 0x3
	v_fma_f64 v[43:44], v[43:44], -0.5, v[64:65]
	v_add_f64_e32 v[47:48], v[62:63], v[1:2]
	v_add_f64_e64 v[1:2], v[1:2], -v[5:6]
	v_fma_f64 v[41:42], v[41:42], -0.5, v[62:63]
	v_add_f64_e32 v[45:46], v[64:65], v[3:4]
	v_add_f64_e64 v[3:4], v[3:4], -v[7:8]
	v_add_f64_e32 v[62:63], v[47:48], v[5:6]
	v_fma_f64 v[76:77], v[1:2], s[12:13], v[43:44]
	v_fma_f64 v[80:81], v[1:2], s[2:3], v[43:44]
	v_add_f64_e32 v[1:2], v[9:10], v[13:14]
	v_fma_f64 v[74:75], v[3:4], s[2:3], v[41:42]
	v_fma_f64 v[78:79], v[3:4], s[12:13], v[41:42]
	v_add_f64_e32 v[3:4], v[11:12], v[15:16]
	s_wait_dscnt 0x2
	v_add_f64_e32 v[5:6], v[72:73], v[11:12]
	v_add_f64_e64 v[11:12], v[11:12], -v[15:16]
	v_add_f64_e32 v[64:65], v[45:46], v[7:8]
	v_add_f64_e32 v[7:8], v[70:71], v[9:10]
	v_fma_f64 v[1:2], v[1:2], -0.5, v[70:71]
	v_fma_f64 v[3:4], v[3:4], -0.5, v[72:73]
	v_add_f64_e32 v[72:73], v[5:6], v[15:16]
	v_add_f64_e64 v[5:6], v[9:10], -v[13:14]
	v_add_f64_e64 v[9:10], v[19:20], -v[23:24]
	v_add_f64_e32 v[70:71], v[7:8], v[13:14]
	s_wait_dscnt 0x1
	v_add_f64_e32 v[7:8], v[93:94], v[17:18]
	v_fma_f64 v[82:83], v[11:12], s[2:3], v[1:2]
	v_fma_f64 v[89:90], v[11:12], s[12:13], v[1:2]
	v_add_f64_e32 v[1:2], v[17:18], v[21:22]
	v_fma_f64 v[84:85], v[5:6], s[12:13], v[3:4]
	v_fma_f64 v[91:92], v[5:6], s[2:3], v[3:4]
	v_add_f64_e32 v[3:4], v[19:20], v[23:24]
	v_add_f64_e32 v[5:6], v[95:96], v[19:20]
	v_fma_f64 v[1:2], v[1:2], -0.5, v[93:94]
	v_add_f64_e32 v[93:94], v[7:8], v[21:22]
	s_wait_dscnt 0x0
	v_add_f64_e32 v[7:8], v[104:105], v[25:26]
	v_fma_f64 v[3:4], v[3:4], -0.5, v[95:96]
	v_add_f64_e32 v[95:96], v[5:6], v[23:24]
	v_add_f64_e64 v[5:6], v[17:18], -v[21:22]
	v_fma_f64 v[108:109], v[9:10], s[2:3], v[1:2]
	v_fma_f64 v[112:113], v[9:10], s[12:13], v[1:2]
	v_add_f64_e32 v[1:2], v[25:26], v[29:30]
	v_add_f64_e64 v[9:10], v[27:28], -v[31:32]
	v_fma_f64 v[110:111], v[5:6], s[12:13], v[3:4]
	v_fma_f64 v[114:115], v[5:6], s[2:3], v[3:4]
	v_add_f64_e32 v[3:4], v[27:28], v[31:32]
	v_add_f64_e32 v[5:6], v[106:107], v[27:28]
	v_fma_f64 v[1:2], v[1:2], -0.5, v[104:105]
	v_add_f64_e32 v[104:105], v[7:8], v[29:30]
	v_add_f64_e32 v[7:8], v[66:67], v[33:34]
	v_fma_f64 v[3:4], v[3:4], -0.5, v[106:107]
	v_add_f64_e32 v[106:107], v[5:6], v[31:32]
	v_add_f64_e64 v[5:6], v[25:26], -v[29:30]
	v_mul_lo_u16 v25, 0x6d, v61
	s_delay_alu instid0(VALU_DEP_1) | instskip(NEXT) | instid1(VALU_DEP_1)
	v_lshrrev_b16 v25, 8, v25
	v_sub_nc_u16 v26, v88, v25
	s_delay_alu instid0(VALU_DEP_1) | instskip(NEXT) | instid1(VALU_DEP_1)
	v_lshrrev_b16 v26, 1, v26
	v_and_b32_e32 v26, 0x7f, v26
	s_delay_alu instid0(VALU_DEP_1)
	v_add_nc_u16 v25, v26, v25
	v_fma_f64 v[116:117], v[9:10], s[2:3], v[1:2]
	v_fma_f64 v[120:121], v[9:10], s[12:13], v[1:2]
	v_add_f64_e32 v[1:2], v[33:34], v[37:38]
	v_add_f64_e64 v[9:10], v[35:36], -v[39:40]
	v_fma_f64 v[118:119], v[5:6], s[12:13], v[3:4]
	v_fma_f64 v[122:123], v[5:6], s[2:3], v[3:4]
	v_add_f64_e32 v[3:4], v[35:36], v[39:40]
	v_add_f64_e32 v[5:6], v[68:69], v[35:36]
	v_fma_f64 v[1:2], v[1:2], -0.5, v[66:67]
	v_add_f64_e32 v[66:67], v[7:8], v[37:38]
	s_delay_alu instid0(VALU_DEP_4) | instskip(NEXT) | instid1(VALU_DEP_4)
	v_fma_f64 v[3:4], v[3:4], -0.5, v[68:69]
	v_add_f64_e32 v[68:69], v[5:6], v[39:40]
	v_add_f64_e64 v[5:6], v[33:34], -v[37:38]
	v_mul_lo_u16 v33, 0x6d, v60
	s_delay_alu instid0(VALU_DEP_1) | instskip(NEXT) | instid1(VALU_DEP_1)
	v_lshrrev_b16 v33, 8, v33
	v_sub_nc_u16 v34, v102, v33
	s_delay_alu instid0(VALU_DEP_1) | instskip(NEXT) | instid1(VALU_DEP_1)
	v_lshrrev_b16 v34, 1, v34
	v_and_b32_e32 v34, 0x7f, v34
	s_delay_alu instid0(VALU_DEP_1)
	v_add_nc_u16 v33, v34, v33
	v_fma_f64 v[124:125], v[9:10], s[2:3], v[1:2]
	v_fma_f64 v[128:129], v[9:10], s[12:13], v[1:2]
	s_wait_alu 0xfffd
	v_cndmask_b32_e64 v1, 0, 45, vcc_lo
	v_cmp_gt_u16_e64 vcc_lo, 18, v237
	v_lshrrev_b16 v33, 5, v33
	s_delay_alu instid0(VALU_DEP_3) | instskip(NEXT) | instid1(VALU_DEP_2)
	v_add_nc_u32_e32 v0, v0, v1
	v_mul_lo_u16 v33, v33, 45
	v_fma_f64 v[126:127], v[5:6], s[12:13], v[3:4]
	s_delay_alu instid0(VALU_DEP_3) | instskip(SKIP_1) | instid1(VALU_DEP_4)
	v_lshl_add_u32 v0, v0, 4, v228
	v_fma_f64 v[130:131], v[5:6], s[2:3], v[3:4]
	v_sub_nc_u16 v33, v102, v33
	scratch_store_b32 off, v0, off offset:448 ; 4-byte Folded Spill
	global_wb scope:SCOPE_SE
	s_wait_storecnt 0x0
	s_barrier_signal -1
	s_barrier_wait -1
	global_inv scope:SCOPE_SE
	ds_store_b128 v0, v[62:65]
	ds_store_b128 v0, v[74:77] offset:240
	ds_store_b128 v0, v[78:81] offset:480
	v_and_b32_e32 v0, 0xffff, v49
	v_lshrrev_b16 v49, 5, v25
	s_delay_alu instid0(VALU_DEP_2) | instskip(NEXT) | instid1(VALU_DEP_2)
	v_mul_u32_u24_e32 v0, 45, v0
	v_mul_lo_u16 v25, v49, 45
	s_delay_alu instid0(VALU_DEP_2) | instskip(NEXT) | instid1(VALU_DEP_2)
	v_add_nc_u32_e32 v0, v0, v50
	v_sub_nc_u16 v25, v88, v25
	s_delay_alu instid0(VALU_DEP_2) | instskip(NEXT) | instid1(VALU_DEP_2)
	v_lshl_add_u32 v0, v0, 4, v228
	v_and_b32_e32 v50, 0xff, v25
	scratch_store_b32 off, v0, off offset:444 ; 4-byte Folded Spill
	ds_store_b128 v0, v[70:73]
	ds_store_b128 v0, v[82:85] offset:240
	ds_store_b128 v0, v[89:92] offset:480
	v_and_b32_e32 v0, 0xffff, v51
	v_and_b32_e32 v51, 0xff, v33
	v_lshlrev_b32_e32 v25, 5, v50
	s_delay_alu instid0(VALU_DEP_3) | instskip(NEXT) | instid1(VALU_DEP_3)
	v_mul_u32_u24_e32 v0, 45, v0
	v_lshlrev_b32_e32 v33, 5, v51
	s_delay_alu instid0(VALU_DEP_2) | instskip(NEXT) | instid1(VALU_DEP_1)
	v_add_nc_u32_e32 v0, v0, v52
	v_lshl_add_u32 v0, v0, 4, v228
	scratch_store_b32 off, v0, off offset:440 ; 4-byte Folded Spill
	ds_store_b128 v0, v[93:96]
	ds_store_b128 v0, v[108:111] offset:240
	ds_store_b128 v0, v[112:115] offset:480
	v_and_b32_e32 v0, 0xffff, v53
	v_lshl_add_u32 v115, v51, 4, v228
	s_delay_alu instid0(VALU_DEP_2) | instskip(NEXT) | instid1(VALU_DEP_1)
	v_mul_u32_u24_e32 v0, 45, v0
	v_add_nc_u32_e32 v0, v0, v54
	s_delay_alu instid0(VALU_DEP_1)
	v_lshl_add_u32 v0, v0, 4, v228
	scratch_store_b32 off, v0, off offset:436 ; 4-byte Folded Spill
	ds_store_b128 v0, v[104:107]
	ds_store_b128 v0, v[116:119] offset:240
	ds_store_b128 v0, v[120:123] offset:480
	v_and_b32_e32 v0, 0xffff, v55
	s_delay_alu instid0(VALU_DEP_1) | instskip(NEXT) | instid1(VALU_DEP_1)
	v_mul_u32_u24_e32 v0, 45, v0
	v_add_nc_u32_e32 v0, v0, v56
	s_delay_alu instid0(VALU_DEP_1)
	v_lshl_add_u32 v0, v0, 4, v228
	scratch_store_b32 off, v0, off offset:432 ; 4-byte Folded Spill
	ds_store_b128 v0, v[66:69]
	ds_store_b128 v0, v[124:127] offset:240
	ds_store_b128 v0, v[128:131] offset:480
	global_wb scope:SCOPE_SE
	s_wait_storecnt_dscnt 0x0
	s_barrier_signal -1
	s_barrier_wait -1
	global_inv scope:SCOPE_SE
	scratch_store_b32 off, v57, off offset:428 ; 4-byte Folded Spill
	s_clause 0x1
	global_load_b128 v[8:11], v97, s[10:11] offset:640
	global_load_b128 v[4:7], v97, s[10:11] offset:656
	ds_load_b128 v[76:79], v222 offset:2160
	ds_load_b128 v[80:83], v222 offset:1728
	s_wait_loadcnt_dscnt 0x101
	v_mul_f64_e32 v[0:1], v[78:79], v[10:11]
	v_mul_f64_e32 v[2:3], v[76:77], v[10:11]
	scratch_store_b128 off, v[8:11], off offset:412 ; 16-byte Folded Spill
	v_fma_f64 v[0:1], v[76:77], v[8:9], -v[0:1]
	v_fma_f64 v[2:3], v[78:79], v[8:9], v[2:3]
	s_wait_loadcnt 0x0
	v_mov_b32_e32 v11, v7
	ds_load_b128 v[76:79], v222 offset:4320
	ds_load_b128 v[84:87], v222 offset:4752
	v_dual_mov_b32 v10, v6 :: v_dual_mov_b32 v9, v5
	v_mov_b32_e32 v8, v4
	scratch_store_b128 off, v[8:11], off offset:396 ; 16-byte Folded Spill
	s_wait_dscnt 0x1
	v_mul_f64_e32 v[4:5], v[78:79], v[10:11]
	v_mul_f64_e32 v[6:7], v[76:77], v[10:11]
	s_delay_alu instid0(VALU_DEP_2) | instskip(NEXT) | instid1(VALU_DEP_2)
	v_fma_f64 v[4:5], v[76:77], v[8:9], -v[4:5]
	v_fma_f64 v[6:7], v[78:79], v[8:9], v[6:7]
	v_add_co_u32 v8, s24, 0xffffffee, v57
	s_wait_alu 0xf1ff
	v_add_co_ci_u32_e64 v9, null, 0, -1, s24
	s_wait_alu 0xfffd
	s_delay_alu instid0(VALU_DEP_1) | instskip(NEXT) | instid1(VALU_DEP_1)
	v_dual_cndmask_b32 v12, v8, v100 :: v_dual_cndmask_b32 v13, v9, v103
	v_lshlrev_b64_e32 v[8:9], 5, v[12:13]
	s_delay_alu instid0(VALU_DEP_1) | instskip(SKIP_1) | instid1(VALU_DEP_2)
	v_add_co_u32 v8, vcc_lo, s10, v8
	s_wait_alu 0xfffd
	v_add_co_ci_u32_e32 v9, vcc_lo, s11, v9, vcc_lo
	s_clause 0x1
	global_load_b128 v[116:119], v[8:9], off offset:640
	global_load_b128 v[233:236], v[8:9], off offset:656
	ds_load_b128 v[76:79], v222 offset:2592
	ds_load_b128 v[89:92], v222 offset:3024
	s_clause 0x1
	global_load_b128 v[120:123], v97, s[10:11] offset:928
	global_load_b128 v[224:227], v97, s[10:11] offset:944
	v_cmp_lt_u16_e64 vcc_lo, 17, v237
	v_add_f64_e32 v[41:42], v[0:1], v[4:5]
	v_add_f64_e32 v[43:44], v[2:3], v[6:7]
	s_wait_loadcnt_dscnt 0x301
	v_mul_f64_e32 v[8:9], v[78:79], v[118:119]
	v_mul_f64_e32 v[10:11], v[76:77], v[118:119]
	s_wait_loadcnt 0x2
	v_mul_f64_e32 v[13:14], v[86:87], v[235:236]
	v_mul_f64_e32 v[15:16], v[84:85], v[235:236]
	s_wait_loadcnt_dscnt 0x100
	v_mul_f64_e32 v[17:18], v[91:92], v[122:123]
	v_mul_f64_e32 v[19:20], v[89:90], v[122:123]
	v_fma_f64 v[8:9], v[76:77], v[116:117], -v[8:9]
	v_fma_f64 v[10:11], v[78:79], v[116:117], v[10:11]
	v_fma_f64 v[13:14], v[84:85], v[233:234], -v[13:14]
	v_fma_f64 v[15:16], v[86:87], v[233:234], v[15:16]
	ds_load_b128 v[76:79], v222 offset:5184
	ds_load_b128 v[84:87], v222 offset:5616
	v_fma_f64 v[17:18], v[89:90], v[120:121], -v[17:18]
	v_fma_f64 v[19:20], v[91:92], v[120:121], v[19:20]
	s_clause 0x1
	global_load_b128 v[128:131], v25, s[10:11] offset:640
	global_load_b128 v[124:127], v25, s[10:11] offset:656
	s_wait_loadcnt_dscnt 0x201
	v_mul_f64_e32 v[21:22], v[78:79], v[226:227]
	v_mul_f64_e32 v[23:24], v[76:77], v[226:227]
	s_delay_alu instid0(VALU_DEP_2) | instskip(NEXT) | instid1(VALU_DEP_2)
	v_fma_f64 v[21:22], v[76:77], v[224:225], -v[21:22]
	v_fma_f64 v[23:24], v[78:79], v[224:225], v[23:24]
	ds_load_b128 v[76:79], v222 offset:3456
	ds_load_b128 v[89:92], v222 offset:3888
	s_clause 0x1
	global_load_b128 v[136:139], v33, s[10:11] offset:640
	global_load_b128 v[132:135], v33, s[10:11] offset:656
	ds_load_b128 v[60:63], v222 offset:6048
	s_wait_loadcnt_dscnt 0x302
	v_mul_f64_e32 v[25:26], v[78:79], v[130:131]
	v_mul_f64_e32 v[27:28], v[76:77], v[130:131]
	s_wait_loadcnt 0x2
	v_mul_f64_e32 v[31:32], v[84:85], v[126:127]
	v_mul_f64_e32 v[29:30], v[86:87], v[126:127]
	s_delay_alu instid0(VALU_DEP_4) | instskip(NEXT) | instid1(VALU_DEP_4)
	v_fma_f64 v[25:26], v[76:77], v[128:129], -v[25:26]
	v_fma_f64 v[27:28], v[78:79], v[128:129], v[27:28]
	s_delay_alu instid0(VALU_DEP_4) | instskip(NEXT) | instid1(VALU_DEP_4)
	v_fma_f64 v[31:32], v[86:87], v[124:125], v[31:32]
	v_fma_f64 v[29:30], v[84:85], v[124:125], -v[29:30]
	s_wait_loadcnt_dscnt 0x101
	v_mul_f64_e32 v[35:36], v[89:90], v[138:139]
	s_wait_loadcnt_dscnt 0x0
	v_mul_f64_e32 v[37:38], v[62:63], v[134:135]
	v_mul_f64_e32 v[39:40], v[60:61], v[134:135]
	v_mul_f64_e32 v[33:34], v[91:92], v[138:139]
	s_delay_alu instid0(VALU_DEP_4) | instskip(NEXT) | instid1(VALU_DEP_4)
	v_fma_f64 v[35:36], v[91:92], v[136:137], v[35:36]
	v_fma_f64 v[37:38], v[60:61], v[132:133], -v[37:38]
	s_delay_alu instid0(VALU_DEP_4)
	v_fma_f64 v[39:40], v[62:63], v[132:133], v[39:40]
	ds_load_b128 v[60:63], v222
	ds_load_b128 v[76:79], v222 offset:432
	v_fma_f64 v[33:34], v[89:90], v[136:137], -v[33:34]
	ds_load_b128 v[241:244], v222 offset:864
	ds_load_b128 v[245:248], v222 offset:1296
	global_wb scope:SCOPE_SE
	s_wait_storecnt_dscnt 0x0
	s_barrier_signal -1
	s_barrier_wait -1
	global_inv scope:SCOPE_SE
	v_fma_f64 v[43:44], v[43:44], -0.5, v[62:63]
	v_add_f64_e32 v[47:48], v[60:61], v[0:1]
	v_add_f64_e64 v[0:1], v[0:1], -v[4:5]
	v_fma_f64 v[41:42], v[41:42], -0.5, v[60:61]
	v_add_f64_e32 v[45:46], v[62:63], v[2:3]
	v_add_f64_e64 v[2:3], v[2:3], -v[6:7]
	v_add_f64_e32 v[60:61], v[47:48], v[4:5]
	v_fma_f64 v[86:87], v[0:1], s[12:13], v[43:44]
	v_fma_f64 v[91:92], v[0:1], s[2:3], v[43:44]
	v_add_f64_e32 v[0:1], v[8:9], v[13:14]
	v_fma_f64 v[84:85], v[2:3], s[2:3], v[41:42]
	v_fma_f64 v[89:90], v[2:3], s[12:13], v[41:42]
	v_add_f64_e32 v[2:3], v[10:11], v[15:16]
	v_add_f64_e32 v[4:5], v[78:79], v[10:11]
	v_add_f64_e64 v[10:11], v[10:11], -v[15:16]
	v_add_f64_e32 v[62:63], v[45:46], v[6:7]
	v_add_f64_e32 v[6:7], v[76:77], v[8:9]
	ds_store_b128 v222, v[60:63]
	ds_store_b128 v222, v[84:87] offset:720
	ds_store_b128 v222, v[89:92] offset:1440
	v_fma_f64 v[0:1], v[0:1], -0.5, v[76:77]
	v_fma_f64 v[2:3], v[2:3], -0.5, v[78:79]
	v_add_f64_e32 v[78:79], v[4:5], v[15:16]
	v_add_f64_e64 v[4:5], v[8:9], -v[13:14]
	v_add_f64_e64 v[8:9], v[19:20], -v[23:24]
	v_add_f64_e32 v[76:77], v[6:7], v[13:14]
	v_add_f64_e64 v[13:14], v[27:28], -v[31:32]
	v_add_f64_e32 v[6:7], v[241:242], v[17:18]
	v_add_f64_e64 v[15:16], v[33:34], -v[37:38]
	v_fma_f64 v[93:94], v[10:11], s[2:3], v[0:1]
	v_fma_f64 v[103:104], v[10:11], s[12:13], v[0:1]
	v_add_f64_e32 v[0:1], v[17:18], v[21:22]
	v_fma_f64 v[95:96], v[4:5], s[12:13], v[2:3]
	v_fma_f64 v[105:106], v[4:5], s[2:3], v[2:3]
	v_add_f64_e32 v[2:3], v[19:20], v[23:24]
	v_add_f64_e32 v[4:5], v[243:244], v[19:20]
	v_fma_f64 v[0:1], v[0:1], -0.5, v[241:242]
	v_add_f64_e32 v[241:242], v[6:7], v[21:22]
	v_add_f64_e32 v[6:7], v[245:246], v[25:26]
	v_fma_f64 v[2:3], v[2:3], -0.5, v[243:244]
	v_add_f64_e32 v[243:244], v[4:5], v[23:24]
	v_add_f64_e64 v[4:5], v[17:18], -v[21:22]
	v_fma_f64 v[249:250], v[8:9], s[2:3], v[0:1]
	v_fma_f64 v[8:9], v[8:9], s[12:13], v[0:1]
	v_add_f64_e32 v[0:1], v[25:26], v[29:30]
	s_delay_alu instid0(VALU_DEP_4)
	v_fma_f64 v[251:252], v[4:5], s[12:13], v[2:3]
	v_fma_f64 v[10:11], v[4:5], s[2:3], v[2:3]
	v_add_f64_e32 v[2:3], v[27:28], v[31:32]
	v_add_f64_e32 v[4:5], v[247:248], v[27:28]
	v_fma_f64 v[0:1], v[0:1], -0.5, v[245:246]
	v_add_f64_e32 v[245:246], v[6:7], v[29:30]
	s_delay_alu instid0(VALU_DEP_4) | instskip(NEXT) | instid1(VALU_DEP_4)
	v_fma_f64 v[2:3], v[2:3], -0.5, v[247:248]
	v_add_f64_e32 v[247:248], v[4:5], v[31:32]
	v_add_f64_e64 v[4:5], v[25:26], -v[29:30]
	v_fma_f64 v[229:230], v[13:14], s[2:3], v[0:1]
	v_fma_f64 v[64:65], v[13:14], s[12:13], v[0:1]
	v_add_f64_e32 v[0:1], v[33:34], v[37:38]
	v_add_f64_e64 v[13:14], v[35:36], -v[39:40]
	v_fma_f64 v[231:232], v[4:5], s[12:13], v[2:3]
	v_fma_f64 v[66:67], v[4:5], s[2:3], v[2:3]
	v_add_f64_e32 v[4:5], v[80:81], v[33:34]
	v_fma_f64 v[2:3], v[0:1], -0.5, v[80:81]
	v_add_f64_e32 v[0:1], v[35:36], v[39:40]
	s_delay_alu instid0(VALU_DEP_3) | instskip(NEXT) | instid1(VALU_DEP_3)
	v_add_f64_e32 v[80:81], v[4:5], v[37:38]
	v_fma_f64 v[4:5], v[13:14], s[12:13], v[2:3]
	s_delay_alu instid0(VALU_DEP_3) | instskip(SKIP_1) | instid1(VALU_DEP_1)
	v_fma_f64 v[6:7], v[0:1], -0.5, v[82:83]
	v_add_f64_e32 v[0:1], v[82:83], v[35:36]
	v_add_f64_e32 v[82:83], v[0:1], v[39:40]
	v_fma_f64 v[0:1], v[13:14], s[2:3], v[2:3]
	s_delay_alu instid0(VALU_DEP_4) | instskip(SKIP_3) | instid1(VALU_DEP_1)
	v_fma_f64 v[2:3], v[15:16], s[12:13], v[6:7]
	v_fma_f64 v[6:7], v[15:16], s[2:3], v[6:7]
	s_wait_alu 0xfffd
	v_cndmask_b32_e64 v13, 0, 0x87, vcc_lo
	v_add_nc_u32_e32 v12, v12, v13
	s_delay_alu instid0(VALU_DEP_1)
	v_lshl_add_u32 v114, v12, 4, v228
	ds_store_b128 v114, v[76:79]
	ds_store_b128 v114, v[93:96] offset:720
	ds_store_b128 v114, v[103:106] offset:1440
	;; [unrolled: 1-line block ×5, first 2 shown]
	v_and_b32_e32 v8, 0xffff, v49
	s_delay_alu instid0(VALU_DEP_1) | instskip(NEXT) | instid1(VALU_DEP_1)
	v_mul_u32_u24_e32 v8, 0x87, v8
	v_add_nc_u32_e32 v8, v8, v50
	s_delay_alu instid0(VALU_DEP_1)
	v_lshl_add_u32 v8, v8, 4, v228
	ds_store_b128 v8, v[245:248]
	ds_store_b128 v8, v[229:232] offset:720
	ds_store_b128 v8, v[64:67] offset:1440
	;; [unrolled: 1-line block ×5, first 2 shown]
	global_wb scope:SCOPE_SE
	s_wait_dscnt 0x0
	s_barrier_signal -1
	s_barrier_wait -1
	global_inv scope:SCOPE_SE
	s_clause 0x1
	global_load_b128 v[4:7], v97, s[10:11] offset:2080
	global_load_b128 v[22:25], v97, s[10:11] offset:2096
	ds_load_b128 v[0:3], v222 offset:2160
	ds_load_b128 v[12:15], v222 offset:1728
	s_wait_loadcnt 0x1
	v_dual_mov_b32 v232, v8 :: v_dual_mov_b32 v9, v7
	v_dual_mov_b32 v8, v6 :: v_dual_mov_b32 v7, v5
	v_mov_b32_e32 v6, v4
	s_wait_dscnt 0x1
	s_delay_alu instid0(VALU_DEP_2) | instskip(SKIP_3) | instid1(VALU_DEP_1)
	v_mul_f64_e32 v[4:5], v[2:3], v[8:9]
	scratch_store_b128 off, v[6:9], off offset:252 ; 16-byte Folded Spill
	v_fma_f64 v[4:5], v[0:1], v[6:7], -v[4:5]
	v_mul_f64_e32 v[0:1], v[0:1], v[8:9]
	v_fma_f64 v[6:7], v[2:3], v[6:7], v[0:1]
	ds_load_b128 v[0:3], v222 offset:4320
	ds_load_b128 v[8:11], v222 offset:4752
	s_wait_loadcnt_dscnt 0x1
	v_mul_f64_e32 v[16:17], v[2:3], v[24:25]
	s_delay_alu instid0(VALU_DEP_1) | instskip(SKIP_1) | instid1(VALU_DEP_1)
	v_fma_f64 v[20:21], v[0:1], v[22:23], -v[16:17]
	v_mul_f64_e32 v[0:1], v[0:1], v[24:25]
	v_fma_f64 v[16:17], v[2:3], v[22:23], v[0:1]
	v_lshlrev_b32_e32 v0, 5, v100
	s_clause 0x1
	global_load_b128 v[30:33], v0, s[10:11] offset:2080
	global_load_b128 v[26:29], v0, s[10:11] offset:2096
	scratch_store_b128 off, v[22:25], off offset:268 ; 16-byte Folded Spill
	s_wait_loadcnt 0x1
	scratch_store_b128 off, v[30:33], off offset:284 ; 16-byte Folded Spill
	ds_load_b128 v[0:3], v222 offset:2592
	ds_load_b128 v[96:99], v222 offset:3024
	s_wait_dscnt 0x1
	v_mul_f64_e32 v[18:19], v[2:3], v[32:33]
	s_delay_alu instid0(VALU_DEP_1) | instskip(SKIP_1) | instid1(VALU_DEP_1)
	v_fma_f64 v[22:23], v[0:1], v[30:31], -v[18:19]
	v_mul_f64_e32 v[0:1], v[0:1], v[32:33]
	v_fma_f64 v[24:25], v[2:3], v[30:31], v[0:1]
	s_wait_loadcnt 0x0
	v_mov_b32_e32 v31, v29
	v_dual_mov_b32 v30, v28 :: v_dual_mov_b32 v29, v27
	v_mov_b32_e32 v28, v26
	s_delay_alu instid0(VALU_DEP_2) | instskip(SKIP_3) | instid1(VALU_DEP_1)
	v_mul_f64_e32 v[0:1], v[10:11], v[30:31]
	scratch_store_b128 off, v[28:31], off offset:300 ; 16-byte Folded Spill
	v_fma_f64 v[26:27], v[8:9], v[28:29], -v[0:1]
	v_mul_f64_e32 v[0:1], v[8:9], v[30:31]
	v_fma_f64 v[28:29], v[10:11], v[28:29], v[0:1]
	v_lshlrev_b32_e32 v0, 5, v101
	s_clause 0x1
	global_load_b128 v[8:11], v0, s[10:11] offset:2080
	global_load_b128 v[34:37], v0, s[10:11] offset:2096
	s_wait_loadcnt_dscnt 0x100
	v_mul_f64_e32 v[0:1], v[98:99], v[10:11]
	scratch_store_b128 off, v[8:11], off offset:332 ; 16-byte Folded Spill
	s_wait_loadcnt 0x0
	v_mov_b32_e32 v39, v37
	v_dual_mov_b32 v38, v36 :: v_dual_mov_b32 v37, v35
	v_mov_b32_e32 v36, v34
	v_fma_f64 v[30:31], v[96:97], v[8:9], -v[0:1]
	v_mul_f64_e32 v[0:1], v[96:97], v[10:11]
	s_delay_alu instid0(VALU_DEP_1)
	v_fma_f64 v[32:33], v[98:99], v[8:9], v[0:1]
	ds_load_b128 v[0:3], v222 offset:5184
	ds_load_b128 v[8:11], v222 offset:5616
	scratch_store_b128 off, v[36:39], off offset:316 ; 16-byte Folded Spill
	s_wait_dscnt 0x1
	v_mul_f64_e32 v[18:19], v[2:3], v[38:39]
	s_delay_alu instid0(VALU_DEP_1) | instskip(SKIP_1) | instid1(VALU_DEP_1)
	v_fma_f64 v[34:35], v[0:1], v[36:37], -v[18:19]
	v_mul_f64_e32 v[0:1], v[0:1], v[38:39]
	v_fma_f64 v[36:37], v[2:3], v[36:37], v[0:1]
	v_lshlrev_b32_e32 v0, 5, v88
	s_clause 0x1
	global_load_b128 v[46:49], v0, s[10:11] offset:2080
	global_load_b128 v[38:41], v0, s[10:11] offset:2096
	s_wait_loadcnt 0x1
	scratch_store_b128 off, v[46:49], off offset:348 ; 16-byte Folded Spill
	ds_load_b128 v[0:3], v222 offset:3456
	ds_load_b128 v[228:231], v222 offset:3888
	s_wait_dscnt 0x1
	v_mul_f64_e32 v[18:19], v[2:3], v[48:49]
	s_delay_alu instid0(VALU_DEP_1) | instskip(SKIP_2) | instid1(VALU_DEP_2)
	v_fma_f64 v[44:45], v[0:1], v[46:47], -v[18:19]
	v_mul_f64_e32 v[0:1], v[0:1], v[48:49]
	v_add_f64_e32 v[18:19], v[4:5], v[20:21]
	v_fma_f64 v[46:47], v[2:3], v[46:47], v[0:1]
	s_wait_loadcnt 0x0
	v_mul_f64_e32 v[0:1], v[10:11], v[40:41]
	s_delay_alu instid0(VALU_DEP_1) | instskip(SKIP_1) | instid1(VALU_DEP_1)
	v_fma_f64 v[48:49], v[8:9], v[38:39], -v[0:1]
	v_mul_f64_e32 v[0:1], v[8:9], v[40:41]
	v_fma_f64 v[50:51], v[10:11], v[38:39], v[0:1]
	v_lshlrev_b32_e32 v0, 5, v102
	s_clause 0x1
	global_load_b128 v[8:11], v0, s[10:11] offset:2080
	global_load_b128 v[237:240], v0, s[10:11] offset:2096
	scratch_store_b128 off, v[38:41], off offset:364 ; 16-byte Folded Spill
	s_wait_loadcnt 0x1
	scratch_store_b128 off, v[8:11], off offset:380 ; 16-byte Folded Spill
	s_wait_dscnt 0x0
	v_mul_f64_e32 v[0:1], v[230:231], v[10:11]
	s_delay_alu instid0(VALU_DEP_1) | instskip(SKIP_1) | instid1(VALU_DEP_1)
	v_fma_f64 v[52:53], v[228:229], v[8:9], -v[0:1]
	v_mul_f64_e32 v[0:1], v[228:229], v[10:11]
	v_fma_f64 v[54:55], v[230:231], v[8:9], v[0:1]
	ds_load_b128 v[0:3], v222 offset:6048
	s_wait_loadcnt_dscnt 0x0
	v_mul_f64_e32 v[8:9], v[2:3], v[239:240]
	s_delay_alu instid0(VALU_DEP_1) | instskip(SKIP_1) | instid1(VALU_DEP_1)
	v_fma_f64 v[56:57], v[0:1], v[237:238], -v[8:9]
	v_mul_f64_e32 v[0:1], v[0:1], v[239:240]
	v_fma_f64 v[58:59], v[2:3], v[237:238], v[0:1]
	ds_load_b128 v[0:3], v222
	ds_load_b128 v[8:11], v222 offset:432
	s_wait_dscnt 0x1
	v_fma_f64 v[38:39], v[18:19], -0.5, v[0:1]
	v_add_f64_e32 v[18:19], v[6:7], v[16:17]
	v_add_f64_e32 v[0:1], v[0:1], v[4:5]
	s_delay_alu instid0(VALU_DEP_2) | instskip(SKIP_2) | instid1(VALU_DEP_2)
	v_fma_f64 v[40:41], v[18:19], -0.5, v[2:3]
	v_add_f64_e32 v[2:3], v[2:3], v[6:7]
	v_add_f64_e64 v[6:7], v[6:7], -v[16:17]
	v_add_f64_e32 v[18:19], v[2:3], v[16:17]
	v_add_f64_e32 v[16:17], v[0:1], v[20:21]
	v_add_f64_e64 v[0:1], v[4:5], -v[20:21]
	v_add_f64_e32 v[2:3], v[24:25], v[28:29]
	s_wait_dscnt 0x0
	v_add_f64_e32 v[4:5], v[10:11], v[24:25]
	v_add_f64_e64 v[20:21], v[24:25], -v[28:29]
	v_fma_f64 v[228:229], v[6:7], s[2:3], v[38:39]
	v_fma_f64 v[241:242], v[6:7], s[12:13], v[38:39]
	v_add_f64_e32 v[6:7], v[8:9], v[22:23]
	v_add_f64_e64 v[24:25], v[32:33], -v[36:37]
	v_fma_f64 v[230:231], v[0:1], s[12:13], v[40:41]
	v_fma_f64 v[243:244], v[0:1], s[2:3], v[40:41]
	v_add_f64_e32 v[0:1], v[22:23], v[26:27]
	v_fma_f64 v[2:3], v[2:3], -0.5, v[10:11]
	v_add_f64_e32 v[10:11], v[4:5], v[28:29]
	v_add_f64_e64 v[4:5], v[22:23], -v[26:27]
	v_add_f64_e32 v[22:23], v[32:33], v[36:37]
	v_fma_f64 v[0:1], v[0:1], -0.5, v[8:9]
	v_add_f64_e32 v[8:9], v[6:7], v[26:27]
	v_add_f64_e64 v[26:27], v[30:31], -v[34:35]
	v_fma_f64 v[247:248], v[4:5], s[12:13], v[2:3]
	v_fma_f64 v[251:252], v[4:5], s[2:3], v[2:3]
	;; [unrolled: 1-line block ×4, first 2 shown]
	v_add_f64_e32 v[20:21], v[30:31], v[34:35]
	ds_load_b128 v[0:3], v222 offset:864
	ds_load_b128 v[4:7], v222 offset:1296
	s_wait_dscnt 0x1
	v_fma_f64 v[22:23], v[22:23], -0.5, v[2:3]
	v_add_f64_e32 v[2:3], v[2:3], v[32:33]
	v_fma_f64 v[20:21], v[20:21], -0.5, v[0:1]
	v_add_f64_e32 v[0:1], v[0:1], v[30:31]
	s_delay_alu instid0(VALU_DEP_4) | instskip(NEXT) | instid1(VALU_DEP_4)
	v_fma_f64 v[38:39], v[26:27], s[12:13], v[22:23]
	v_add_f64_e32 v[2:3], v[2:3], v[36:37]
	v_fma_f64 v[42:43], v[26:27], s[2:3], v[22:23]
	v_add_f64_e32 v[22:23], v[46:47], v[50:51]
	v_add_f64_e64 v[26:27], v[44:45], -v[48:49]
	v_fma_f64 v[36:37], v[24:25], s[2:3], v[20:21]
	v_fma_f64 v[40:41], v[24:25], s[12:13], v[20:21]
	v_add_f64_e32 v[20:21], v[44:45], v[48:49]
	v_add_f64_e64 v[24:25], v[46:47], -v[50:51]
	v_add_f64_e32 v[0:1], v[0:1], v[34:35]
	s_wait_dscnt 0x0
	v_fma_f64 v[22:23], v[22:23], -0.5, v[6:7]
	v_add_f64_e32 v[6:7], v[6:7], v[46:47]
	v_fma_f64 v[20:21], v[20:21], -0.5, v[4:5]
	v_add_f64_e32 v[4:5], v[4:5], v[44:45]
	v_add_f64_e64 v[44:45], v[52:53], -v[56:57]
	v_fma_f64 v[34:35], v[26:27], s[12:13], v[22:23]
	v_fma_f64 v[30:31], v[26:27], s[2:3], v[22:23]
	v_add_f64_e32 v[6:7], v[6:7], v[50:51]
	v_fma_f64 v[32:33], v[24:25], s[2:3], v[20:21]
	v_fma_f64 v[28:29], v[24:25], s[12:13], v[20:21]
	v_add_f64_e32 v[20:21], v[52:53], v[56:57]
	v_add_f64_e64 v[24:25], v[54:55], -v[58:59]
	v_add_f64_e32 v[4:5], v[4:5], v[48:49]
	s_delay_alu instid0(VALU_DEP_3) | instskip(SKIP_2) | instid1(VALU_DEP_2)
	v_fma_f64 v[22:23], v[20:21], -0.5, v[12:13]
	v_add_f64_e32 v[20:21], v[54:55], v[58:59]
	v_add_f64_e32 v[12:13], v[12:13], v[52:53]
	v_fma_f64 v[26:27], v[20:21], -0.5, v[14:15]
	v_add_f64_e32 v[14:15], v[14:15], v[54:55]
	s_delay_alu instid0(VALU_DEP_3)
	v_add_f64_e32 v[12:13], v[12:13], v[56:57]
	v_fma_f64 v[20:21], v[24:25], s[2:3], v[22:23]
	v_fma_f64 v[24:25], v[24:25], s[12:13], v[22:23]
	;; [unrolled: 1-line block ×3, first 2 shown]
	v_add_f64_e32 v[14:15], v[14:15], v[58:59]
	v_fma_f64 v[26:27], v[44:45], s[2:3], v[26:27]
	ds_store_b128 v222, v[16:19]
	ds_store_b128 v222, v[8:11] offset:432
	ds_store_b128 v222, v[0:3] offset:864
	;; [unrolled: 1-line block ×14, first 2 shown]
	global_wb scope:SCOPE_SE
	s_wait_storecnt_dscnt 0x0
	s_barrier_signal -1
	s_barrier_wait -1
	global_inv scope:SCOPE_SE
	global_load_b128 v[0:3], v223, s[8:9] offset:6480
	ds_load_b128 v[4:7], v222
	ds_load_b128 v[8:11], v222 offset:432
	s_add_nc_u64 s[8:9], s[8:9], 0x1950
	ds_load_b128 v[16:19], v222 offset:1296
	ds_load_b128 v[44:47], v222 offset:864
	s_clause 0x1
	global_load_b128 v[28:31], v223, s[8:9] offset:2592
	global_load_b128 v[20:23], v223, s[8:9] offset:1728
	s_wait_loadcnt_dscnt 0x203
	v_mul_f64_e32 v[12:13], v[6:7], v[2:3]
	v_mul_f64_e32 v[2:3], v[4:5], v[2:3]
	s_delay_alu instid0(VALU_DEP_2)
	v_fma_f64 v[64:65], v[4:5], v[0:1], -v[12:13]
	global_load_b128 v[12:15], v223, s[8:9] offset:1296
	ds_load_b128 v[32:35], v222 offset:2592
	ds_load_b128 v[36:39], v222 offset:3024
	s_clause 0x1
	global_load_b128 v[40:43], v223, s[8:9] offset:2160
	global_load_b128 v[228:231], v223, s[8:9] offset:3888
	v_fma_f64 v[66:67], v[6:7], v[0:1], v[2:3]
	ds_load_b128 v[241:244], v222 offset:3888
	ds_load_b128 v[249:252], v222 offset:3456
	global_load_b128 v[245:248], v223, s[8:9] offset:4320
	s_wait_loadcnt_dscnt 0x305
	v_mul_f64_e32 v[0:1], v[18:19], v[14:15]
	v_mul_f64_e32 v[2:3], v[16:17], v[14:15]
	s_delay_alu instid0(VALU_DEP_2) | instskip(NEXT) | instid1(VALU_DEP_2)
	v_fma_f64 v[60:61], v[16:17], v[12:13], -v[0:1]
	v_fma_f64 v[62:63], v[18:19], v[12:13], v[2:3]
	s_wait_dscnt 0x3
	v_mul_f64_e32 v[0:1], v[34:35], v[30:31]
	v_mul_f64_e32 v[2:3], v[32:33], v[30:31]
	s_delay_alu instid0(VALU_DEP_2) | instskip(NEXT) | instid1(VALU_DEP_2)
	v_fma_f64 v[56:57], v[32:33], v[28:29], -v[0:1]
	v_fma_f64 v[58:59], v[34:35], v[28:29], v[2:3]
	s_wait_loadcnt_dscnt 0x101
	v_mul_f64_e32 v[0:1], v[243:244], v[230:231]
	v_mul_f64_e32 v[2:3], v[241:242], v[230:231]
	s_delay_alu instid0(VALU_DEP_2) | instskip(NEXT) | instid1(VALU_DEP_2)
	v_fma_f64 v[241:242], v[241:242], v[228:229], -v[0:1]
	v_fma_f64 v[243:244], v[243:244], v[228:229], v[2:3]
	global_load_b128 v[228:231], v223, s[8:9] offset:5184
	ds_load_b128 v[0:3], v222 offset:5184
	ds_load_b128 v[24:27], v222 offset:5616
	global_load_b128 v[28:31], v223, s[8:9] offset:4752
	s_wait_loadcnt_dscnt 0x101
	v_mul_f64_e32 v[4:5], v[2:3], v[230:231]
	v_mul_f64_e32 v[6:7], v[0:1], v[230:231]
	s_delay_alu instid0(VALU_DEP_2) | instskip(NEXT) | instid1(VALU_DEP_2)
	v_fma_f64 v[52:53], v[0:1], v[228:229], -v[4:5]
	v_fma_f64 v[54:55], v[2:3], v[228:229], v[6:7]
	s_clause 0x1
	global_load_b128 v[228:231], v223, s[8:9] offset:432
	global_load_b128 v[12:15], v223, s[8:9] offset:864
	s_wait_loadcnt 0x1
	v_mul_f64_e32 v[0:1], v[10:11], v[230:231]
	v_mul_f64_e32 v[2:3], v[8:9], v[230:231]
	s_delay_alu instid0(VALU_DEP_2) | instskip(NEXT) | instid1(VALU_DEP_2)
	v_fma_f64 v[48:49], v[8:9], v[228:229], -v[0:1]
	v_fma_f64 v[50:51], v[10:11], v[228:229], v[2:3]
	ds_load_b128 v[228:231], v222 offset:1728
	ds_load_b128 v[8:11], v222 offset:2160
	s_wait_dscnt 0x1
	v_mul_f64_e32 v[0:1], v[230:231], v[22:23]
	v_mul_f64_e32 v[2:3], v[228:229], v[22:23]
	s_delay_alu instid0(VALU_DEP_2) | instskip(NEXT) | instid1(VALU_DEP_2)
	v_fma_f64 v[228:229], v[228:229], v[20:21], -v[0:1]
	v_fma_f64 v[230:231], v[230:231], v[20:21], v[2:3]
	s_clause 0x1
	global_load_b128 v[20:23], v223, s[8:9] offset:3024
	global_load_b128 v[4:7], v223, s[8:9] offset:3456
	s_wait_loadcnt 0x1
	v_mul_f64_e32 v[0:1], v[38:39], v[22:23]
	v_mul_f64_e32 v[2:3], v[36:37], v[22:23]
	s_delay_alu instid0(VALU_DEP_2) | instskip(NEXT) | instid1(VALU_DEP_2)
	v_fma_f64 v[36:37], v[36:37], v[20:21], -v[0:1]
	v_fma_f64 v[38:39], v[38:39], v[20:21], v[2:3]
	ds_load_b128 v[20:23], v222 offset:4320
	ds_load_b128 v[0:3], v222 offset:4752
	s_wait_dscnt 0x1
	v_mul_f64_e32 v[16:17], v[22:23], v[247:248]
	v_mul_f64_e32 v[18:19], v[20:21], v[247:248]
	s_delay_alu instid0(VALU_DEP_2) | instskip(NEXT) | instid1(VALU_DEP_2)
	v_fma_f64 v[32:33], v[20:21], v[245:246], -v[16:17]
	v_fma_f64 v[34:35], v[22:23], v[245:246], v[18:19]
	s_clause 0x1
	global_load_b128 v[245:248], v223, s[8:9] offset:5616
	global_load_b128 v[16:19], v223, s[8:9] offset:6048
	s_wait_loadcnt 0x1
	v_mul_f64_e32 v[20:21], v[26:27], v[247:248]
	v_mul_f64_e32 v[22:23], v[24:25], v[247:248]
	s_delay_alu instid0(VALU_DEP_2) | instskip(SKIP_2) | instid1(VALU_DEP_4)
	v_fma_f64 v[24:25], v[24:25], v[245:246], -v[20:21]
	v_mul_f64_e32 v[20:21], v[46:47], v[14:15]
	v_mul_f64_e32 v[14:15], v[44:45], v[14:15]
	v_fma_f64 v[26:27], v[26:27], v[245:246], v[22:23]
	s_delay_alu instid0(VALU_DEP_3) | instskip(NEXT) | instid1(VALU_DEP_3)
	v_fma_f64 v[44:45], v[44:45], v[12:13], -v[20:21]
	v_fma_f64 v[46:47], v[46:47], v[12:13], v[14:15]
	v_mul_f64_e32 v[12:13], v[10:11], v[42:43]
	v_mul_f64_e32 v[14:15], v[8:9], v[42:43]
	s_delay_alu instid0(VALU_DEP_2) | instskip(SKIP_2) | instid1(VALU_DEP_4)
	v_fma_f64 v[8:9], v[8:9], v[40:41], -v[12:13]
	v_mul_f64_e32 v[12:13], v[251:252], v[6:7]
	v_mul_f64_e32 v[6:7], v[249:250], v[6:7]
	v_fma_f64 v[10:11], v[10:11], v[40:41], v[14:15]
	s_delay_alu instid0(VALU_DEP_3) | instskip(NEXT) | instid1(VALU_DEP_3)
	v_fma_f64 v[12:13], v[249:250], v[4:5], -v[12:13]
	v_fma_f64 v[14:15], v[251:252], v[4:5], v[6:7]
	s_wait_dscnt 0x0
	v_mul_f64_e32 v[4:5], v[2:3], v[30:31]
	v_mul_f64_e32 v[6:7], v[0:1], v[30:31]
	s_delay_alu instid0(VALU_DEP_2) | instskip(NEXT) | instid1(VALU_DEP_2)
	v_fma_f64 v[0:1], v[0:1], v[28:29], -v[4:5]
	v_fma_f64 v[2:3], v[2:3], v[28:29], v[6:7]
	ds_load_b128 v[4:7], v222 offset:6048
	s_wait_loadcnt_dscnt 0x0
	v_mul_f64_e32 v[20:21], v[6:7], v[18:19]
	v_mul_f64_e32 v[18:19], v[4:5], v[18:19]
	s_delay_alu instid0(VALU_DEP_2) | instskip(NEXT) | instid1(VALU_DEP_2)
	v_fma_f64 v[4:5], v[4:5], v[16:17], -v[20:21]
	v_fma_f64 v[6:7], v[6:7], v[16:17], v[18:19]
	ds_store_b128 v222, v[64:67]
	ds_store_b128 v222, v[48:51] offset:432
	ds_store_b128 v222, v[56:59] offset:2592
	;; [unrolled: 1-line block ×14, first 2 shown]
	global_wb scope:SCOPE_SE
	s_wait_dscnt 0x0
	s_barrier_signal -1
	s_barrier_wait -1
	global_inv scope:SCOPE_SE
	ds_load_b128 v[0:3], v222 offset:1296
	ds_load_b128 v[4:7], v222
	ds_load_b128 v[8:11], v222 offset:432
	ds_load_b128 v[12:15], v222 offset:864
	;; [unrolled: 1-line block ×4, first 2 shown]
	s_wait_dscnt 0x4
	v_add_f64_e32 v[24:25], v[4:5], v[0:1]
	s_wait_dscnt 0x1
	v_add_f64_e64 v[94:95], v[0:1], -v[16:17]
	v_add_f64_e64 v[68:69], v[16:17], -v[0:1]
	v_add_f64_e64 v[88:89], v[2:3], -v[18:19]
	v_add_f64_e64 v[58:59], v[18:19], -v[2:3]
	v_add_f64_e32 v[36:37], v[24:25], v[16:17]
	v_add_f64_e32 v[24:25], v[6:7], v[2:3]
	s_delay_alu instid0(VALU_DEP_1)
	v_add_f64_e32 v[38:39], v[24:25], v[18:19]
	ds_load_b128 v[24:27], v222 offset:3888
	ds_load_b128 v[28:31], v222 offset:3456
	s_wait_dscnt 0x1
	v_add_f64_e32 v[70:71], v[16:17], v[24:25]
	v_add_f64_e64 v[46:47], v[18:19], -v[26:27]
	v_add_f64_e32 v[52:53], v[18:19], v[26:27]
	v_add_f64_e64 v[54:55], v[16:17], -v[24:25]
	ds_load_b128 v[16:19], v222 offset:5184
	ds_load_b128 v[32:35], v222 offset:5616
	s_wait_dscnt 0x1
	v_add_f64_e64 v[60:61], v[2:3], -v[18:19]
	v_add_f64_e32 v[62:63], v[0:1], v[16:17]
	v_add_f64_e64 v[64:65], v[0:1], -v[16:17]
	v_add_f64_e32 v[66:67], v[2:3], v[18:19]
	v_add_f64_e32 v[0:1], v[36:37], v[24:25]
	;; [unrolled: 1-line block ×3, first 2 shown]
	v_add_f64_e64 v[228:229], v[16:17], -v[24:25]
	v_add_f64_e64 v[230:231], v[24:25], -v[16:17]
	;; [unrolled: 1-line block ×4, first 2 shown]
	v_add_f64_e32 v[0:1], v[0:1], v[16:17]
	v_add_f64_e32 v[2:3], v[2:3], v[18:19]
	ds_load_b128 v[16:19], v222 offset:1728
	ds_load_b128 v[24:27], v222 offset:2160
	s_wait_dscnt 0x1
	v_add_f64_e32 v[36:37], v[8:9], v[16:17]
	v_add_f64_e64 v[96:97], v[16:17], -v[20:21]
	v_add_f64_e64 v[72:73], v[20:21], -v[16:17]
	v_add_f64_e32 v[82:83], v[16:17], v[32:33]
	v_add_f64_e64 v[253:254], v[16:17], -v[32:33]
	v_add_f64_e64 v[90:91], v[18:19], -v[22:23]
	;; [unrolled: 1-line block ×4, first 2 shown]
	v_add_f64_e32 v[50:51], v[18:19], v[34:35]
	s_wait_dscnt 0x0
	v_add_f64_e64 v[112:113], v[24:25], -v[28:29]
	v_add_f64_e64 v[100:101], v[28:29], -v[24:25]
	v_add_f64_e64 v[108:109], v[26:27], -v[30:31]
	v_add_f64_e64 v[84:85], v[30:31], -v[26:27]
	v_add_f64_e32 v[245:246], v[36:37], v[20:21]
	v_add_f64_e32 v[36:37], v[10:11], v[18:19]
	s_delay_alu instid0(VALU_DEP_1)
	v_add_f64_e32 v[247:248], v[36:37], v[22:23]
	ds_load_b128 v[36:39], v222 offset:4320
	ds_load_b128 v[40:43], v222 offset:4752
	s_wait_dscnt 0x1
	v_add_f64_e32 v[249:250], v[20:21], v[36:37]
	v_add_f64_e64 v[74:75], v[20:21], -v[36:37]
	v_add_f64_e32 v[16:17], v[245:246], v[36:37]
	v_add_f64_e32 v[20:21], v[12:13], v[24:25]
	v_add_f64_e64 v[86:87], v[32:33], -v[36:37]
	v_add_f64_e64 v[251:252], v[22:23], -v[38:39]
	v_add_f64_e32 v[56:57], v[22:23], v[38:39]
	v_add_f64_e64 v[245:246], v[34:35], -v[38:39]
	v_add_f64_e64 v[48:49], v[38:39], -v[34:35]
	s_wait_dscnt 0x0
	v_add_f64_e32 v[104:105], v[28:29], v[40:41]
	v_add_f64_e32 v[98:99], v[30:31], v[42:43]
	;; [unrolled: 1-line block ×3, first 2 shown]
	v_add_f64_e64 v[247:248], v[36:37], -v[32:33]
	v_add_f64_e32 v[36:37], v[16:17], v[32:33]
	v_add_f64_e32 v[32:33], v[20:21], v[28:29]
	;; [unrolled: 1-line block ×3, first 2 shown]
	v_add_f64_e64 v[16:17], v[28:29], -v[40:41]
	v_fma_f64 v[28:29], v[70:71], -0.5, v[4:5]
	v_add_f64_e32 v[38:39], v[18:19], v[34:35]
	v_add_f64_e64 v[18:19], v[30:31], -v[42:43]
	v_add_f64_e32 v[34:35], v[20:21], v[30:31]
	ds_load_b128 v[20:23], v222 offset:6048
	v_fma_f64 v[30:31], v[52:53], -0.5, v[6:7]
	v_add_f64_e32 v[52:53], v[94:95], v[228:229]
	global_wb scope:SCOPE_SE
	s_wait_dscnt 0x0
	s_barrier_signal -1
	s_barrier_wait -1
	global_inv scope:SCOPE_SE
	v_add_f64_e32 v[76:77], v[24:25], v[20:21]
	v_add_f64_e64 v[106:107], v[24:25], -v[20:21]
	v_add_f64_e32 v[24:25], v[32:33], v[40:41]
	v_add_f64_e64 v[110:111], v[20:21], -v[40:41]
	v_add_f64_e64 v[40:41], v[40:41], -v[20:21]
	v_add_f64_e32 v[32:33], v[68:69], v[230:231]
	v_add_f64_e64 v[102:103], v[26:27], -v[22:23]
	v_add_f64_e32 v[80:81], v[26:27], v[22:23]
	;; [unrolled: 2-line block ×4, first 2 shown]
	v_add_f64_e32 v[58:59], v[88:89], v[241:242]
	v_add_f64_e32 v[20:21], v[24:25], v[20:21]
	v_fma_f64 v[24:25], v[62:63], -0.5, v[4:5]
	v_add_f64_e32 v[22:23], v[26:27], v[22:23]
	v_fma_f64 v[26:27], v[66:67], -0.5, v[6:7]
	s_delay_alu instid0(VALU_DEP_3) | instskip(SKIP_1) | instid1(VALU_DEP_3)
	v_fma_f64 v[4:5], v[46:47], s[20:21], v[24:25]
	v_fma_f64 v[24:25], v[46:47], s[22:23], v[24:25]
	;; [unrolled: 1-line block ×4, first 2 shown]
	s_delay_alu instid0(VALU_DEP_4) | instskip(NEXT) | instid1(VALU_DEP_4)
	v_fma_f64 v[4:5], v[60:61], s[16:17], v[4:5]
	v_fma_f64 v[24:25], v[60:61], s[14:15], v[24:25]
	s_delay_alu instid0(VALU_DEP_4) | instskip(NEXT) | instid1(VALU_DEP_4)
	v_fma_f64 v[6:7], v[64:65], s[14:15], v[6:7]
	v_fma_f64 v[26:27], v[64:65], s[16:17], v[26:27]
	;; [unrolled: 3-line block ×3, first 2 shown]
	v_fma_f64 v[32:33], v[60:61], s[22:23], v[28:29]
	v_fma_f64 v[28:29], v[60:61], s[20:21], v[28:29]
	;; [unrolled: 1-line block ×8, first 2 shown]
	s_delay_alu instid0(VALU_DEP_4) | instskip(NEXT) | instid1(VALU_DEP_4)
	v_fma_f64 v[34:35], v[54:55], s[14:15], v[34:35]
	v_fma_f64 v[54:55], v[54:55], s[16:17], v[30:31]
	s_delay_alu instid0(VALU_DEP_4) | instskip(NEXT) | instid1(VALU_DEP_4)
	v_fma_f64 v[28:29], v[52:53], s[18:19], v[32:33]
	v_fma_f64 v[32:33], v[52:53], s[18:19], v[46:47]
	scratch_load_b32 v46, off, off offset:248 th:TH_LOAD_LU ; 4-byte Folded Reload
	v_fma_f64 v[30:31], v[58:59], s[18:19], v[34:35]
	v_fma_f64 v[34:35], v[58:59], s[18:19], v[54:55]
	s_wait_loadcnt 0x0
	ds_store_b128 v46, v[0:3]
	ds_store_b128 v46, v[28:31] offset:16
	ds_store_b128 v46, v[4:7] offset:32
	;; [unrolled: 1-line block ×4, first 2 shown]
	v_fma_f64 v[4:5], v[82:83], -0.5, v[8:9]
	v_fma_f64 v[6:7], v[50:51], -0.5, v[10:11]
	;; [unrolled: 1-line block ×4, first 2 shown]
	v_add_f64_e32 v[10:11], v[72:73], v[247:248]
	v_add_f64_e32 v[26:27], v[78:79], v[48:49]
	v_add_f64_e32 v[28:29], v[96:97], v[86:87]
	v_add_f64_e32 v[30:31], v[90:91], v[245:246]
	v_fma_f64 v[0:1], v[251:252], s[20:21], v[4:5]
	v_fma_f64 v[2:3], v[74:75], s[22:23], v[6:7]
	;; [unrolled: 1-line block ×4, first 2 shown]
	s_delay_alu instid0(VALU_DEP_4) | instskip(NEXT) | instid1(VALU_DEP_4)
	v_fma_f64 v[0:1], v[44:45], s[16:17], v[0:1]
	v_fma_f64 v[2:3], v[253:254], s[14:15], v[2:3]
	s_delay_alu instid0(VALU_DEP_4) | instskip(NEXT) | instid1(VALU_DEP_4)
	v_fma_f64 v[4:5], v[44:45], s[14:15], v[4:5]
	v_fma_f64 v[6:7], v[253:254], s[16:17], v[6:7]
	;; [unrolled: 3-line block ×4, first 2 shown]
	v_fma_f64 v[10:11], v[44:45], s[22:23], v[8:9]
	v_fma_f64 v[26:27], v[253:254], s[20:21], v[24:25]
	;; [unrolled: 1-line block ×4, first 2 shown]
	s_delay_alu instid0(VALU_DEP_4) | instskip(NEXT) | instid1(VALU_DEP_4)
	v_fma_f64 v[10:11], v[251:252], s[16:17], v[10:11]
	v_fma_f64 v[26:27], v[74:75], s[14:15], v[26:27]
	s_delay_alu instid0(VALU_DEP_4) | instskip(NEXT) | instid1(VALU_DEP_4)
	v_fma_f64 v[32:33], v[251:252], s[14:15], v[8:9]
	v_fma_f64 v[34:35], v[74:75], s[16:17], v[24:25]
	;; [unrolled: 3-line block ×4, first 2 shown]
	ds_store_b128 v220, v[36:39]
	ds_store_b128 v220, v[8:11] offset:16
	ds_store_b128 v220, v[0:3] offset:32
	;; [unrolled: 1-line block ×4, first 2 shown]
	v_fma_f64 v[4:5], v[76:77], -0.5, v[12:13]
	v_fma_f64 v[6:7], v[80:81], -0.5, v[14:15]
	v_fma_f64 v[8:9], v[104:105], -0.5, v[12:13]
	v_fma_f64 v[10:11], v[98:99], -0.5, v[14:15]
	v_add_f64_e32 v[12:13], v[100:101], v[40:41]
	v_add_f64_e32 v[14:15], v[84:85], v[42:43]
	;; [unrolled: 1-line block ×4, first 2 shown]
	v_fma_f64 v[0:1], v[18:19], s[20:21], v[4:5]
	v_fma_f64 v[2:3], v[16:17], s[22:23], v[6:7]
	;; [unrolled: 1-line block ×4, first 2 shown]
	s_delay_alu instid0(VALU_DEP_4) | instskip(NEXT) | instid1(VALU_DEP_4)
	v_fma_f64 v[0:1], v[102:103], s[16:17], v[0:1]
	v_fma_f64 v[2:3], v[106:107], s[14:15], v[2:3]
	s_delay_alu instid0(VALU_DEP_4) | instskip(NEXT) | instid1(VALU_DEP_4)
	v_fma_f64 v[4:5], v[102:103], s[14:15], v[4:5]
	v_fma_f64 v[6:7], v[106:107], s[16:17], v[6:7]
	;; [unrolled: 3-line block ×4, first 2 shown]
	v_fma_f64 v[12:13], v[102:103], s[22:23], v[8:9]
	v_fma_f64 v[14:15], v[106:107], s[20:21], v[10:11]
	;; [unrolled: 1-line block ×4, first 2 shown]
	s_delay_alu instid0(VALU_DEP_4) | instskip(NEXT) | instid1(VALU_DEP_4)
	v_fma_f64 v[12:13], v[18:19], s[16:17], v[12:13]
	v_fma_f64 v[14:15], v[16:17], s[14:15], v[14:15]
	s_delay_alu instid0(VALU_DEP_4) | instskip(NEXT) | instid1(VALU_DEP_4)
	v_fma_f64 v[18:19], v[18:19], s[14:15], v[8:9]
	v_fma_f64 v[16:17], v[16:17], s[16:17], v[10:11]
	;; [unrolled: 3-line block ×4, first 2 shown]
	ds_store_b128 v221, v[20:23]
	ds_store_b128 v221, v[8:11] offset:16
	ds_store_b128 v221, v[0:3] offset:32
	;; [unrolled: 1-line block ×4, first 2 shown]
	global_wb scope:SCOPE_SE
	s_wait_dscnt 0x0
	s_barrier_signal -1
	s_barrier_wait -1
	global_inv scope:SCOPE_SE
	ds_load_b128 v[0:3], v222 offset:2160
	ds_load_b128 v[4:7], v222 offset:1728
	s_wait_dscnt 0x1
	v_mul_f64_e32 v[8:9], v[186:187], v[2:3]
	s_delay_alu instid0(VALU_DEP_1) | instskip(SKIP_1) | instid1(VALU_DEP_1)
	v_fma_f64 v[16:17], v[184:185], v[0:1], v[8:9]
	v_mul_f64_e32 v[0:1], v[186:187], v[0:1]
	v_fma_f64 v[18:19], v[184:185], v[2:3], -v[0:1]
	ds_load_b128 v[0:3], v222 offset:4320
	ds_load_b128 v[8:11], v222 offset:4752
	s_wait_dscnt 0x1
	v_mul_f64_e32 v[12:13], v[182:183], v[2:3]
	s_delay_alu instid0(VALU_DEP_1) | instskip(SKIP_1) | instid1(VALU_DEP_1)
	v_fma_f64 v[20:21], v[180:181], v[0:1], v[12:13]
	v_mul_f64_e32 v[0:1], v[182:183], v[0:1]
	v_fma_f64 v[22:23], v[180:181], v[2:3], -v[0:1]
	;; [unrolled: 8-line block ×3, first 2 shown]
	v_mul_f64_e32 v[0:1], v[190:191], v[10:11]
	s_delay_alu instid0(VALU_DEP_1) | instskip(SKIP_1) | instid1(VALU_DEP_1)
	v_fma_f64 v[32:33], v[188:189], v[8:9], v[0:1]
	v_mul_f64_e32 v[0:1], v[190:191], v[8:9]
	v_fma_f64 v[34:35], v[188:189], v[10:11], -v[0:1]
	s_wait_dscnt 0x0
	v_mul_f64_e32 v[0:1], v[202:203], v[14:15]
	s_delay_alu instid0(VALU_DEP_1) | instskip(SKIP_1) | instid1(VALU_DEP_1)
	v_fma_f64 v[36:37], v[200:201], v[12:13], v[0:1]
	v_mul_f64_e32 v[0:1], v[202:203], v[12:13]
	v_fma_f64 v[38:39], v[200:201], v[14:15], -v[0:1]
	ds_load_b128 v[0:3], v222 offset:5184
	ds_load_b128 v[8:11], v222 offset:5616
	s_wait_dscnt 0x1
	v_mul_f64_e32 v[12:13], v[198:199], v[2:3]
	s_delay_alu instid0(VALU_DEP_1) | instskip(SKIP_1) | instid1(VALU_DEP_1)
	v_fma_f64 v[40:41], v[196:197], v[0:1], v[12:13]
	v_mul_f64_e32 v[0:1], v[198:199], v[0:1]
	v_fma_f64 v[42:43], v[196:197], v[2:3], -v[0:1]
	ds_load_b128 v[0:3], v222 offset:3456
	ds_load_b128 v[12:15], v222 offset:3888
	s_wait_dscnt 0x1
	v_mul_f64_e32 v[24:25], v[210:211], v[2:3]
	s_delay_alu instid0(VALU_DEP_1) | instskip(SKIP_1) | instid1(VALU_DEP_1)
	v_fma_f64 v[44:45], v[208:209], v[0:1], v[24:25]
	v_mul_f64_e32 v[0:1], v[210:211], v[0:1]
	v_fma_f64 v[46:47], v[208:209], v[2:3], -v[0:1]
	v_mul_f64_e32 v[0:1], v[206:207], v[10:11]
	s_delay_alu instid0(VALU_DEP_1) | instskip(SKIP_1) | instid1(VALU_DEP_1)
	v_fma_f64 v[48:49], v[204:205], v[8:9], v[0:1]
	v_mul_f64_e32 v[0:1], v[206:207], v[8:9]
	v_fma_f64 v[50:51], v[204:205], v[10:11], -v[0:1]
	s_wait_dscnt 0x0
	v_mul_f64_e32 v[0:1], v[218:219], v[14:15]
	s_delay_alu instid0(VALU_DEP_1) | instskip(SKIP_2) | instid1(VALU_DEP_2)
	v_fma_f64 v[52:53], v[216:217], v[12:13], v[0:1]
	v_mul_f64_e32 v[0:1], v[218:219], v[12:13]
	v_add_f64_e32 v[12:13], v[16:17], v[20:21]
	v_fma_f64 v[54:55], v[216:217], v[14:15], -v[0:1]
	ds_load_b128 v[0:3], v222 offset:6048
	s_wait_dscnt 0x0
	v_mul_f64_e32 v[8:9], v[214:215], v[2:3]
	s_delay_alu instid0(VALU_DEP_1) | instskip(SKIP_1) | instid1(VALU_DEP_1)
	v_fma_f64 v[56:57], v[212:213], v[0:1], v[8:9]
	v_mul_f64_e32 v[0:1], v[214:215], v[0:1]
	v_fma_f64 v[58:59], v[212:213], v[2:3], -v[0:1]
	ds_load_b128 v[0:3], v222
	ds_load_b128 v[8:11], v222 offset:432
	s_wait_dscnt 0x1
	v_fma_f64 v[14:15], v[12:13], -0.5, v[0:1]
	v_add_f64_e32 v[12:13], v[18:19], v[22:23]
	v_add_f64_e32 v[0:1], v[0:1], v[16:17]
	s_delay_alu instid0(VALU_DEP_2) | instskip(SKIP_2) | instid1(VALU_DEP_4)
	v_fma_f64 v[24:25], v[12:13], -0.5, v[2:3]
	v_add_f64_e32 v[2:3], v[2:3], v[18:19]
	v_add_f64_e64 v[18:19], v[18:19], -v[22:23]
	v_add_f64_e32 v[0:1], v[0:1], v[20:21]
	v_add_f64_e64 v[20:21], v[16:17], -v[20:21]
	s_delay_alu instid0(VALU_DEP_4) | instskip(NEXT) | instid1(VALU_DEP_4)
	v_add_f64_e32 v[2:3], v[2:3], v[22:23]
	v_fma_f64 v[12:13], v[18:19], s[12:13], v[14:15]
	v_fma_f64 v[16:17], v[18:19], s[2:3], v[14:15]
	s_delay_alu instid0(VALU_DEP_4)
	v_fma_f64 v[14:15], v[20:21], s[2:3], v[24:25]
	v_fma_f64 v[18:19], v[20:21], s[12:13], v[24:25]
	ds_load_b128 v[20:23], v222 offset:864
	ds_load_b128 v[24:27], v222 offset:1296
	global_wb scope:SCOPE_SE
	s_wait_dscnt 0x0
	s_barrier_signal -1
	s_barrier_wait -1
	global_inv scope:SCOPE_SE
	ds_store_b128 v255, v[0:3]
	ds_store_b128 v255, v[12:15] offset:80
	ds_store_b128 v255, v[16:19] offset:160
	v_add_f64_e32 v[0:1], v[28:29], v[32:33]
	v_add_f64_e64 v[16:17], v[28:29], -v[32:33]
	s_delay_alu instid0(VALU_DEP_2) | instskip(SKIP_2) | instid1(VALU_DEP_2)
	v_fma_f64 v[12:13], v[0:1], -0.5, v[8:9]
	v_add_f64_e32 v[0:1], v[30:31], v[34:35]
	v_add_f64_e32 v[8:9], v[8:9], v[28:29]
	v_fma_f64 v[14:15], v[0:1], -0.5, v[10:11]
	v_add_f64_e32 v[0:1], v[10:11], v[30:31]
	v_add_f64_e64 v[10:11], v[30:31], -v[34:35]
	s_delay_alu instid0(VALU_DEP_2) | instskip(SKIP_1) | instid1(VALU_DEP_3)
	v_add_f64_e32 v[2:3], v[0:1], v[34:35]
	v_add_f64_e32 v[0:1], v[8:9], v[32:33]
	v_fma_f64 v[8:9], v[10:11], s[12:13], v[12:13]
	v_fma_f64 v[12:13], v[10:11], s[2:3], v[12:13]
	;; [unrolled: 1-line block ×4, first 2 shown]
	scratch_load_b32 v16, off, off offset:464 th:TH_LOAD_LU ; 4-byte Folded Reload
	s_wait_loadcnt 0x0
	ds_store_b128 v16, v[0:3]
	ds_store_b128 v16, v[8:11] offset:80
	ds_store_b128 v16, v[12:15] offset:160
	v_add_f64_e32 v[0:1], v[36:37], v[40:41]
	v_add_f64_e32 v[8:9], v[20:21], v[36:37]
	v_add_f64_e64 v[12:13], v[38:39], -v[42:43]
	v_add_f64_e64 v[16:17], v[36:37], -v[40:41]
	s_delay_alu instid0(VALU_DEP_4) | instskip(SKIP_1) | instid1(VALU_DEP_1)
	v_fma_f64 v[10:11], v[0:1], -0.5, v[20:21]
	v_add_f64_e32 v[0:1], v[38:39], v[42:43]
	v_fma_f64 v[14:15], v[0:1], -0.5, v[22:23]
	v_add_f64_e32 v[0:1], v[22:23], v[38:39]
	s_delay_alu instid0(VALU_DEP_1)
	v_add_f64_e32 v[2:3], v[0:1], v[42:43]
	v_add_f64_e32 v[0:1], v[8:9], v[40:41]
	v_fma_f64 v[8:9], v[12:13], s[12:13], v[10:11]
	v_fma_f64 v[12:13], v[12:13], s[2:3], v[10:11]
	;; [unrolled: 1-line block ×4, first 2 shown]
	scratch_load_b32 v16, off, off offset:460 th:TH_LOAD_LU ; 4-byte Folded Reload
	s_wait_loadcnt 0x0
	ds_store_b128 v16, v[0:3]
	ds_store_b128 v16, v[8:11] offset:80
	ds_store_b128 v16, v[12:15] offset:160
	v_add_f64_e32 v[0:1], v[44:45], v[48:49]
	v_add_f64_e32 v[8:9], v[24:25], v[44:45]
	v_add_f64_e64 v[12:13], v[46:47], -v[50:51]
	v_add_f64_e64 v[16:17], v[44:45], -v[48:49]
	s_delay_alu instid0(VALU_DEP_4) | instskip(SKIP_1) | instid1(VALU_DEP_1)
	v_fma_f64 v[10:11], v[0:1], -0.5, v[24:25]
	v_add_f64_e32 v[0:1], v[46:47], v[50:51]
	v_fma_f64 v[14:15], v[0:1], -0.5, v[26:27]
	v_add_f64_e32 v[0:1], v[26:27], v[46:47]
	s_delay_alu instid0(VALU_DEP_1)
	v_add_f64_e32 v[2:3], v[0:1], v[50:51]
	v_add_f64_e32 v[0:1], v[8:9], v[48:49]
	v_fma_f64 v[8:9], v[12:13], s[12:13], v[10:11]
	v_fma_f64 v[12:13], v[12:13], s[2:3], v[10:11]
	;; [unrolled: 1-line block ×4, first 2 shown]
	scratch_load_b32 v16, off, off offset:456 th:TH_LOAD_LU ; 4-byte Folded Reload
	s_wait_loadcnt 0x0
	ds_store_b128 v16, v[0:3]
	ds_store_b128 v16, v[8:11] offset:80
	ds_store_b128 v16, v[12:15] offset:160
	v_add_f64_e32 v[0:1], v[52:53], v[56:57]
	v_add_f64_e64 v[12:13], v[52:53], -v[56:57]
	s_delay_alu instid0(VALU_DEP_2) | instskip(SKIP_2) | instid1(VALU_DEP_2)
	v_fma_f64 v[8:9], v[0:1], -0.5, v[4:5]
	v_add_f64_e32 v[0:1], v[54:55], v[58:59]
	v_add_f64_e32 v[4:5], v[4:5], v[52:53]
	v_fma_f64 v[10:11], v[0:1], -0.5, v[6:7]
	v_add_f64_e32 v[0:1], v[6:7], v[54:55]
	v_add_f64_e64 v[6:7], v[54:55], -v[58:59]
	s_delay_alu instid0(VALU_DEP_2) | instskip(SKIP_1) | instid1(VALU_DEP_3)
	v_add_f64_e32 v[2:3], v[0:1], v[58:59]
	v_add_f64_e32 v[0:1], v[4:5], v[56:57]
	v_fma_f64 v[4:5], v[6:7], s[12:13], v[8:9]
	v_fma_f64 v[8:9], v[6:7], s[2:3], v[8:9]
	v_fma_f64 v[6:7], v[12:13], s[2:3], v[10:11]
	v_fma_f64 v[10:11], v[12:13], s[12:13], v[10:11]
	scratch_load_b32 v12, off, off offset:452 th:TH_LOAD_LU ; 4-byte Folded Reload
	s_wait_loadcnt 0x0
	ds_store_b128 v12, v[0:3]
	ds_store_b128 v12, v[4:7] offset:80
	ds_store_b128 v12, v[8:11] offset:160
	global_wb scope:SCOPE_SE
	s_wait_dscnt 0x0
	s_barrier_signal -1
	s_barrier_wait -1
	global_inv scope:SCOPE_SE
	ds_load_b128 v[0:3], v222 offset:2160
	ds_load_b128 v[4:7], v222 offset:1728
	s_wait_dscnt 0x1
	v_mul_f64_e32 v[8:9], v[146:147], v[2:3]
	s_delay_alu instid0(VALU_DEP_1) | instskip(SKIP_1) | instid1(VALU_DEP_1)
	v_fma_f64 v[16:17], v[144:145], v[0:1], v[8:9]
	v_mul_f64_e32 v[0:1], v[146:147], v[0:1]
	v_fma_f64 v[18:19], v[144:145], v[2:3], -v[0:1]
	ds_load_b128 v[0:3], v222 offset:4320
	ds_load_b128 v[8:11], v222 offset:4752
	s_wait_dscnt 0x1
	v_mul_f64_e32 v[12:13], v[142:143], v[2:3]
	s_delay_alu instid0(VALU_DEP_1) | instskip(SKIP_1) | instid1(VALU_DEP_1)
	v_fma_f64 v[20:21], v[140:141], v[0:1], v[12:13]
	v_mul_f64_e32 v[0:1], v[142:143], v[0:1]
	v_fma_f64 v[22:23], v[140:141], v[2:3], -v[0:1]
	;; [unrolled: 8-line block ×3, first 2 shown]
	v_mul_f64_e32 v[0:1], v[150:151], v[10:11]
	s_delay_alu instid0(VALU_DEP_1) | instskip(SKIP_1) | instid1(VALU_DEP_1)
	v_fma_f64 v[32:33], v[148:149], v[8:9], v[0:1]
	v_mul_f64_e32 v[0:1], v[150:151], v[8:9]
	v_fma_f64 v[34:35], v[148:149], v[10:11], -v[0:1]
	s_wait_dscnt 0x0
	v_mul_f64_e32 v[0:1], v[162:163], v[14:15]
	s_delay_alu instid0(VALU_DEP_1) | instskip(SKIP_1) | instid1(VALU_DEP_1)
	v_fma_f64 v[36:37], v[160:161], v[12:13], v[0:1]
	v_mul_f64_e32 v[0:1], v[162:163], v[12:13]
	v_fma_f64 v[38:39], v[160:161], v[14:15], -v[0:1]
	ds_load_b128 v[0:3], v222 offset:5184
	ds_load_b128 v[8:11], v222 offset:5616
	s_wait_dscnt 0x1
	v_mul_f64_e32 v[12:13], v[158:159], v[2:3]
	s_delay_alu instid0(VALU_DEP_1) | instskip(SKIP_1) | instid1(VALU_DEP_1)
	v_fma_f64 v[40:41], v[156:157], v[0:1], v[12:13]
	v_mul_f64_e32 v[0:1], v[158:159], v[0:1]
	v_fma_f64 v[42:43], v[156:157], v[2:3], -v[0:1]
	ds_load_b128 v[0:3], v222 offset:3456
	ds_load_b128 v[12:15], v222 offset:3888
	s_wait_dscnt 0x1
	v_mul_f64_e32 v[24:25], v[170:171], v[2:3]
	s_delay_alu instid0(VALU_DEP_1) | instskip(SKIP_1) | instid1(VALU_DEP_1)
	v_fma_f64 v[44:45], v[168:169], v[0:1], v[24:25]
	v_mul_f64_e32 v[0:1], v[170:171], v[0:1]
	v_fma_f64 v[46:47], v[168:169], v[2:3], -v[0:1]
	v_mul_f64_e32 v[0:1], v[166:167], v[10:11]
	s_delay_alu instid0(VALU_DEP_1) | instskip(SKIP_1) | instid1(VALU_DEP_1)
	v_fma_f64 v[48:49], v[164:165], v[8:9], v[0:1]
	v_mul_f64_e32 v[0:1], v[166:167], v[8:9]
	v_fma_f64 v[50:51], v[164:165], v[10:11], -v[0:1]
	s_wait_dscnt 0x0
	v_mul_f64_e32 v[0:1], v[178:179], v[14:15]
	s_delay_alu instid0(VALU_DEP_1) | instskip(SKIP_2) | instid1(VALU_DEP_2)
	v_fma_f64 v[52:53], v[176:177], v[12:13], v[0:1]
	v_mul_f64_e32 v[0:1], v[178:179], v[12:13]
	v_add_f64_e32 v[12:13], v[16:17], v[20:21]
	v_fma_f64 v[54:55], v[176:177], v[14:15], -v[0:1]
	ds_load_b128 v[0:3], v222 offset:6048
	s_wait_dscnt 0x0
	v_mul_f64_e32 v[8:9], v[174:175], v[2:3]
	s_delay_alu instid0(VALU_DEP_1) | instskip(SKIP_1) | instid1(VALU_DEP_1)
	v_fma_f64 v[56:57], v[172:173], v[0:1], v[8:9]
	v_mul_f64_e32 v[0:1], v[174:175], v[0:1]
	v_fma_f64 v[58:59], v[172:173], v[2:3], -v[0:1]
	ds_load_b128 v[0:3], v222
	ds_load_b128 v[8:11], v222 offset:432
	s_wait_dscnt 0x1
	v_fma_f64 v[14:15], v[12:13], -0.5, v[0:1]
	v_add_f64_e32 v[12:13], v[18:19], v[22:23]
	v_add_f64_e32 v[0:1], v[0:1], v[16:17]
	s_delay_alu instid0(VALU_DEP_2) | instskip(SKIP_2) | instid1(VALU_DEP_4)
	v_fma_f64 v[24:25], v[12:13], -0.5, v[2:3]
	v_add_f64_e32 v[2:3], v[2:3], v[18:19]
	v_add_f64_e64 v[18:19], v[18:19], -v[22:23]
	v_add_f64_e32 v[0:1], v[0:1], v[20:21]
	v_add_f64_e64 v[20:21], v[16:17], -v[20:21]
	s_delay_alu instid0(VALU_DEP_4) | instskip(NEXT) | instid1(VALU_DEP_4)
	v_add_f64_e32 v[2:3], v[2:3], v[22:23]
	v_fma_f64 v[12:13], v[18:19], s[12:13], v[14:15]
	v_fma_f64 v[16:17], v[18:19], s[2:3], v[14:15]
	s_delay_alu instid0(VALU_DEP_4)
	v_fma_f64 v[14:15], v[20:21], s[2:3], v[24:25]
	v_fma_f64 v[18:19], v[20:21], s[12:13], v[24:25]
	ds_load_b128 v[20:23], v222 offset:864
	ds_load_b128 v[24:27], v222 offset:1296
	global_wb scope:SCOPE_SE
	s_wait_dscnt 0x0
	s_barrier_signal -1
	s_barrier_wait -1
	global_inv scope:SCOPE_SE
	scratch_load_b32 v60, off, off offset:448 th:TH_LOAD_LU ; 4-byte Folded Reload
	s_wait_loadcnt 0x0
	ds_store_b128 v60, v[0:3]
	ds_store_b128 v60, v[12:15] offset:240
	ds_store_b128 v60, v[16:19] offset:480
	v_add_f64_e32 v[0:1], v[28:29], v[32:33]
	v_add_f64_e64 v[16:17], v[28:29], -v[32:33]
	s_delay_alu instid0(VALU_DEP_2) | instskip(SKIP_2) | instid1(VALU_DEP_2)
	v_fma_f64 v[12:13], v[0:1], -0.5, v[8:9]
	v_add_f64_e32 v[0:1], v[30:31], v[34:35]
	v_add_f64_e32 v[8:9], v[8:9], v[28:29]
	v_fma_f64 v[14:15], v[0:1], -0.5, v[10:11]
	v_add_f64_e32 v[0:1], v[10:11], v[30:31]
	v_add_f64_e64 v[10:11], v[30:31], -v[34:35]
	s_delay_alu instid0(VALU_DEP_2) | instskip(SKIP_1) | instid1(VALU_DEP_3)
	v_add_f64_e32 v[2:3], v[0:1], v[34:35]
	v_add_f64_e32 v[0:1], v[8:9], v[32:33]
	v_fma_f64 v[8:9], v[10:11], s[12:13], v[12:13]
	v_fma_f64 v[12:13], v[10:11], s[2:3], v[12:13]
	;; [unrolled: 1-line block ×4, first 2 shown]
	scratch_load_b32 v16, off, off offset:444 th:TH_LOAD_LU ; 4-byte Folded Reload
	s_wait_loadcnt 0x0
	ds_store_b128 v16, v[0:3]
	ds_store_b128 v16, v[8:11] offset:240
	ds_store_b128 v16, v[12:15] offset:480
	v_add_f64_e32 v[0:1], v[36:37], v[40:41]
	v_add_f64_e32 v[8:9], v[20:21], v[36:37]
	v_add_f64_e64 v[12:13], v[38:39], -v[42:43]
	v_add_f64_e64 v[16:17], v[36:37], -v[40:41]
	s_delay_alu instid0(VALU_DEP_4) | instskip(SKIP_1) | instid1(VALU_DEP_1)
	v_fma_f64 v[10:11], v[0:1], -0.5, v[20:21]
	v_add_f64_e32 v[0:1], v[38:39], v[42:43]
	v_fma_f64 v[14:15], v[0:1], -0.5, v[22:23]
	v_add_f64_e32 v[0:1], v[22:23], v[38:39]
	s_delay_alu instid0(VALU_DEP_1)
	v_add_f64_e32 v[2:3], v[0:1], v[42:43]
	v_add_f64_e32 v[0:1], v[8:9], v[40:41]
	v_fma_f64 v[8:9], v[12:13], s[12:13], v[10:11]
	v_fma_f64 v[12:13], v[12:13], s[2:3], v[10:11]
	;; [unrolled: 1-line block ×4, first 2 shown]
	scratch_load_b32 v16, off, off offset:440 th:TH_LOAD_LU ; 4-byte Folded Reload
	s_wait_loadcnt 0x0
	ds_store_b128 v16, v[0:3]
	ds_store_b128 v16, v[8:11] offset:240
	ds_store_b128 v16, v[12:15] offset:480
	v_add_f64_e32 v[0:1], v[44:45], v[48:49]
	v_add_f64_e32 v[8:9], v[24:25], v[44:45]
	v_add_f64_e64 v[12:13], v[46:47], -v[50:51]
	v_add_f64_e64 v[16:17], v[44:45], -v[48:49]
	s_delay_alu instid0(VALU_DEP_4) | instskip(SKIP_1) | instid1(VALU_DEP_1)
	v_fma_f64 v[10:11], v[0:1], -0.5, v[24:25]
	v_add_f64_e32 v[0:1], v[46:47], v[50:51]
	v_fma_f64 v[14:15], v[0:1], -0.5, v[26:27]
	v_add_f64_e32 v[0:1], v[26:27], v[46:47]
	s_delay_alu instid0(VALU_DEP_1)
	v_add_f64_e32 v[2:3], v[0:1], v[50:51]
	v_add_f64_e32 v[0:1], v[8:9], v[48:49]
	v_fma_f64 v[8:9], v[12:13], s[12:13], v[10:11]
	v_fma_f64 v[12:13], v[12:13], s[2:3], v[10:11]
	;; [unrolled: 1-line block ×4, first 2 shown]
	scratch_load_b32 v16, off, off offset:436 th:TH_LOAD_LU ; 4-byte Folded Reload
	s_wait_loadcnt 0x0
	ds_store_b128 v16, v[0:3]
	ds_store_b128 v16, v[8:11] offset:240
	ds_store_b128 v16, v[12:15] offset:480
	v_add_f64_e32 v[0:1], v[52:53], v[56:57]
	v_add_f64_e64 v[12:13], v[52:53], -v[56:57]
	s_delay_alu instid0(VALU_DEP_2) | instskip(SKIP_2) | instid1(VALU_DEP_2)
	v_fma_f64 v[8:9], v[0:1], -0.5, v[4:5]
	v_add_f64_e32 v[0:1], v[54:55], v[58:59]
	v_add_f64_e32 v[4:5], v[4:5], v[52:53]
	v_fma_f64 v[10:11], v[0:1], -0.5, v[6:7]
	v_add_f64_e32 v[0:1], v[6:7], v[54:55]
	v_add_f64_e64 v[6:7], v[54:55], -v[58:59]
	s_delay_alu instid0(VALU_DEP_2) | instskip(SKIP_1) | instid1(VALU_DEP_3)
	v_add_f64_e32 v[2:3], v[0:1], v[58:59]
	v_add_f64_e32 v[0:1], v[4:5], v[56:57]
	v_fma_f64 v[4:5], v[6:7], s[12:13], v[8:9]
	v_fma_f64 v[8:9], v[6:7], s[2:3], v[8:9]
	;; [unrolled: 1-line block ×4, first 2 shown]
	scratch_load_b32 v12, off, off offset:432 th:TH_LOAD_LU ; 4-byte Folded Reload
	s_wait_loadcnt 0x0
	ds_store_b128 v12, v[0:3]
	ds_store_b128 v12, v[4:7] offset:240
	ds_store_b128 v12, v[8:11] offset:480
	global_wb scope:SCOPE_SE
	s_wait_dscnt 0x0
	s_barrier_signal -1
	s_barrier_wait -1
	global_inv scope:SCOPE_SE
	ds_load_b128 v[0:3], v222 offset:2160
	ds_load_b128 v[4:7], v222 offset:1728
	scratch_load_b128 v[10:13], off, off offset:412 th:TH_LOAD_LU ; 16-byte Folded Reload
	s_wait_loadcnt_dscnt 0x1
	v_mul_f64_e32 v[8:9], v[12:13], v[2:3]
	s_delay_alu instid0(VALU_DEP_1) | instskip(SKIP_1) | instid1(VALU_DEP_1)
	v_fma_f64 v[16:17], v[10:11], v[0:1], v[8:9]
	v_mul_f64_e32 v[0:1], v[12:13], v[0:1]
	v_fma_f64 v[18:19], v[10:11], v[2:3], -v[0:1]
	ds_load_b128 v[0:3], v222 offset:4320
	ds_load_b128 v[8:11], v222 offset:4752
	scratch_load_b128 v[22:25], off, off offset:396 th:TH_LOAD_LU ; 16-byte Folded Reload
	s_wait_loadcnt_dscnt 0x1
	v_mul_f64_e32 v[12:13], v[24:25], v[2:3]
	s_delay_alu instid0(VALU_DEP_1) | instskip(SKIP_1) | instid1(VALU_DEP_1)
	v_fma_f64 v[20:21], v[22:23], v[0:1], v[12:13]
	v_mul_f64_e32 v[0:1], v[24:25], v[0:1]
	v_fma_f64 v[22:23], v[22:23], v[2:3], -v[0:1]
	ds_load_b128 v[0:3], v222 offset:2592
	ds_load_b128 v[12:15], v222 offset:3024
	s_wait_dscnt 0x1
	v_mul_f64_e32 v[24:25], v[118:119], v[2:3]
	s_delay_alu instid0(VALU_DEP_1) | instskip(SKIP_1) | instid1(VALU_DEP_1)
	v_fma_f64 v[24:25], v[116:117], v[0:1], v[24:25]
	v_mul_f64_e32 v[0:1], v[118:119], v[0:1]
	v_fma_f64 v[26:27], v[116:117], v[2:3], -v[0:1]
	v_mul_f64_e32 v[0:1], v[235:236], v[10:11]
	s_delay_alu instid0(VALU_DEP_1) | instskip(SKIP_1) | instid1(VALU_DEP_1)
	v_fma_f64 v[28:29], v[233:234], v[8:9], v[0:1]
	v_mul_f64_e32 v[0:1], v[235:236], v[8:9]
	v_fma_f64 v[30:31], v[233:234], v[10:11], -v[0:1]
	s_wait_dscnt 0x0
	v_mul_f64_e32 v[0:1], v[122:123], v[14:15]
	s_delay_alu instid0(VALU_DEP_1) | instskip(SKIP_1) | instid1(VALU_DEP_1)
	v_fma_f64 v[36:37], v[120:121], v[12:13], v[0:1]
	v_mul_f64_e32 v[0:1], v[122:123], v[12:13]
	v_fma_f64 v[38:39], v[120:121], v[14:15], -v[0:1]
	ds_load_b128 v[0:3], v222 offset:5184
	ds_load_b128 v[8:11], v222 offset:5616
	s_wait_dscnt 0x1
	v_mul_f64_e32 v[12:13], v[226:227], v[2:3]
	s_delay_alu instid0(VALU_DEP_1) | instskip(SKIP_1) | instid1(VALU_DEP_1)
	v_fma_f64 v[40:41], v[224:225], v[0:1], v[12:13]
	v_mul_f64_e32 v[0:1], v[226:227], v[0:1]
	v_fma_f64 v[42:43], v[224:225], v[2:3], -v[0:1]
	ds_load_b128 v[0:3], v222 offset:3456
	ds_load_b128 v[12:15], v222 offset:3888
	s_wait_dscnt 0x1
	v_mul_f64_e32 v[32:33], v[130:131], v[2:3]
	s_delay_alu instid0(VALU_DEP_1) | instskip(SKIP_1) | instid1(VALU_DEP_1)
	v_fma_f64 v[44:45], v[128:129], v[0:1], v[32:33]
	v_mul_f64_e32 v[0:1], v[130:131], v[0:1]
	v_fma_f64 v[46:47], v[128:129], v[2:3], -v[0:1]
	v_mul_f64_e32 v[0:1], v[126:127], v[10:11]
	s_delay_alu instid0(VALU_DEP_1) | instskip(SKIP_1) | instid1(VALU_DEP_1)
	v_fma_f64 v[48:49], v[124:125], v[8:9], v[0:1]
	v_mul_f64_e32 v[0:1], v[126:127], v[8:9]
	v_fma_f64 v[50:51], v[124:125], v[10:11], -v[0:1]
	s_wait_dscnt 0x0
	v_mul_f64_e32 v[0:1], v[138:139], v[14:15]
	s_delay_alu instid0(VALU_DEP_1) | instskip(SKIP_2) | instid1(VALU_DEP_2)
	v_fma_f64 v[52:53], v[136:137], v[12:13], v[0:1]
	v_mul_f64_e32 v[0:1], v[138:139], v[12:13]
	v_add_f64_e32 v[12:13], v[16:17], v[20:21]
	v_fma_f64 v[54:55], v[136:137], v[14:15], -v[0:1]
	ds_load_b128 v[0:3], v222 offset:6048
	s_wait_dscnt 0x0
	v_mul_f64_e32 v[8:9], v[134:135], v[2:3]
	s_delay_alu instid0(VALU_DEP_1) | instskip(SKIP_1) | instid1(VALU_DEP_1)
	v_fma_f64 v[56:57], v[132:133], v[0:1], v[8:9]
	v_mul_f64_e32 v[0:1], v[134:135], v[0:1]
	v_fma_f64 v[58:59], v[132:133], v[2:3], -v[0:1]
	ds_load_b128 v[0:3], v222
	ds_load_b128 v[8:11], v222 offset:432
	s_wait_dscnt 0x1
	v_fma_f64 v[14:15], v[12:13], -0.5, v[0:1]
	v_add_f64_e32 v[12:13], v[18:19], v[22:23]
	v_add_f64_e32 v[0:1], v[0:1], v[16:17]
	s_delay_alu instid0(VALU_DEP_2) | instskip(SKIP_2) | instid1(VALU_DEP_4)
	v_fma_f64 v[32:33], v[12:13], -0.5, v[2:3]
	v_add_f64_e32 v[2:3], v[2:3], v[18:19]
	v_add_f64_e64 v[18:19], v[18:19], -v[22:23]
	v_add_f64_e32 v[0:1], v[0:1], v[20:21]
	v_add_f64_e64 v[20:21], v[16:17], -v[20:21]
	s_delay_alu instid0(VALU_DEP_4) | instskip(NEXT) | instid1(VALU_DEP_4)
	v_add_f64_e32 v[2:3], v[2:3], v[22:23]
	v_fma_f64 v[12:13], v[18:19], s[12:13], v[14:15]
	v_fma_f64 v[16:17], v[18:19], s[2:3], v[14:15]
	s_delay_alu instid0(VALU_DEP_4) | instskip(SKIP_3) | instid1(VALU_DEP_1)
	v_fma_f64 v[14:15], v[20:21], s[2:3], v[32:33]
	v_fma_f64 v[18:19], v[20:21], s[12:13], v[32:33]
	v_add_f64_e32 v[20:21], v[24:25], v[28:29]
	s_wait_dscnt 0x0
	v_fma_f64 v[22:23], v[20:21], -0.5, v[8:9]
	v_add_f64_e32 v[20:21], v[26:27], v[30:31]
	v_add_f64_e32 v[8:9], v[8:9], v[24:25]
	s_delay_alu instid0(VALU_DEP_2) | instskip(SKIP_2) | instid1(VALU_DEP_4)
	v_fma_f64 v[32:33], v[20:21], -0.5, v[10:11]
	v_add_f64_e32 v[10:11], v[10:11], v[26:27]
	v_add_f64_e64 v[26:27], v[26:27], -v[30:31]
	v_add_f64_e32 v[8:9], v[8:9], v[28:29]
	v_add_f64_e64 v[28:29], v[24:25], -v[28:29]
	s_delay_alu instid0(VALU_DEP_4) | instskip(NEXT) | instid1(VALU_DEP_4)
	v_add_f64_e32 v[10:11], v[10:11], v[30:31]
	v_fma_f64 v[20:21], v[26:27], s[12:13], v[22:23]
	v_fma_f64 v[24:25], v[26:27], s[2:3], v[22:23]
	s_delay_alu instid0(VALU_DEP_4)
	v_fma_f64 v[22:23], v[28:29], s[2:3], v[32:33]
	v_fma_f64 v[26:27], v[28:29], s[12:13], v[32:33]
	ds_load_b128 v[28:31], v222 offset:864
	ds_load_b128 v[32:35], v222 offset:1296
	global_wb scope:SCOPE_SE
	s_wait_dscnt 0x0
	s_barrier_signal -1
	s_barrier_wait -1
	global_inv scope:SCOPE_SE
	ds_store_b128 v222, v[0:3]
	ds_store_b128 v222, v[12:15] offset:720
	ds_store_b128 v222, v[16:19] offset:1440
	ds_store_b128 v114, v[8:11]
	ds_store_b128 v114, v[20:23] offset:720
	ds_store_b128 v114, v[24:27] offset:1440
	v_add_f64_e32 v[0:1], v[36:37], v[40:41]
	v_add_f64_e32 v[8:9], v[28:29], v[36:37]
	v_add_f64_e64 v[12:13], v[38:39], -v[42:43]
	v_add_f64_e64 v[16:17], v[36:37], -v[40:41]
	v_add_f64_e32 v[20:21], v[32:33], v[44:45]
	v_add_f64_e64 v[24:25], v[46:47], -v[50:51]
	v_fma_f64 v[10:11], v[0:1], -0.5, v[28:29]
	v_add_f64_e32 v[0:1], v[38:39], v[42:43]
	v_add_f64_e64 v[28:29], v[44:45], -v[48:49]
	s_delay_alu instid0(VALU_DEP_2) | instskip(SKIP_1) | instid1(VALU_DEP_1)
	v_fma_f64 v[14:15], v[0:1], -0.5, v[30:31]
	v_add_f64_e32 v[0:1], v[30:31], v[38:39]
	v_add_f64_e32 v[2:3], v[0:1], v[42:43]
	;; [unrolled: 1-line block ×3, first 2 shown]
	v_fma_f64 v[8:9], v[12:13], s[12:13], v[10:11]
	v_fma_f64 v[12:13], v[12:13], s[2:3], v[10:11]
	v_fma_f64 v[10:11], v[16:17], s[2:3], v[14:15]
	v_fma_f64 v[14:15], v[16:17], s[12:13], v[14:15]
	v_add_f64_e32 v[16:17], v[44:45], v[48:49]
	s_delay_alu instid0(VALU_DEP_1) | instskip(SKIP_1) | instid1(VALU_DEP_1)
	v_fma_f64 v[22:23], v[16:17], -0.5, v[32:33]
	v_add_f64_e32 v[16:17], v[46:47], v[50:51]
	v_fma_f64 v[26:27], v[16:17], -0.5, v[34:35]
	v_add_f64_e32 v[16:17], v[34:35], v[46:47]
	s_delay_alu instid0(VALU_DEP_1)
	v_add_f64_e32 v[18:19], v[16:17], v[50:51]
	v_add_f64_e32 v[16:17], v[20:21], v[48:49]
	v_fma_f64 v[20:21], v[24:25], s[12:13], v[22:23]
	v_fma_f64 v[24:25], v[24:25], s[2:3], v[22:23]
	;; [unrolled: 1-line block ×4, first 2 shown]
	ds_store_b128 v222, v[0:3] offset:2304
	ds_store_b128 v222, v[8:11] offset:3024
	;; [unrolled: 1-line block ×3, first 2 shown]
	ds_store_b128 v232, v[16:19]
	ds_store_b128 v232, v[20:23] offset:720
	ds_store_b128 v232, v[24:27] offset:1440
	v_add_f64_e32 v[0:1], v[52:53], v[56:57]
	v_add_f64_e64 v[12:13], v[52:53], -v[56:57]
	s_delay_alu instid0(VALU_DEP_2) | instskip(SKIP_2) | instid1(VALU_DEP_2)
	v_fma_f64 v[8:9], v[0:1], -0.5, v[4:5]
	v_add_f64_e32 v[0:1], v[54:55], v[58:59]
	v_add_f64_e32 v[4:5], v[4:5], v[52:53]
	v_fma_f64 v[10:11], v[0:1], -0.5, v[6:7]
	v_add_f64_e32 v[0:1], v[6:7], v[54:55]
	v_add_f64_e64 v[6:7], v[54:55], -v[58:59]
	s_delay_alu instid0(VALU_DEP_2) | instskip(SKIP_1) | instid1(VALU_DEP_3)
	v_add_f64_e32 v[2:3], v[0:1], v[58:59]
	v_add_f64_e32 v[0:1], v[4:5], v[56:57]
	v_fma_f64 v[4:5], v[6:7], s[12:13], v[8:9]
	v_fma_f64 v[8:9], v[6:7], s[2:3], v[8:9]
	v_fma_f64 v[6:7], v[12:13], s[2:3], v[10:11]
	v_fma_f64 v[10:11], v[12:13], s[12:13], v[10:11]
	ds_store_b128 v115, v[0:3] offset:4320
	ds_store_b128 v115, v[4:7] offset:5040
	;; [unrolled: 1-line block ×3, first 2 shown]
	global_wb scope:SCOPE_SE
	s_wait_dscnt 0x0
	s_barrier_signal -1
	s_barrier_wait -1
	global_inv scope:SCOPE_SE
	ds_load_b128 v[68:71], v222 offset:2160
	ds_load_b128 v[0:3], v222 offset:1728
	scratch_load_b128 v[6:9], off, off offset:252 th:TH_LOAD_LU ; 16-byte Folded Reload
	s_wait_loadcnt_dscnt 0x1
	v_mul_f64_e32 v[4:5], v[8:9], v[70:71]
	s_delay_alu instid0(VALU_DEP_1) | instskip(SKIP_1) | instid1(VALU_DEP_1)
	v_fma_f64 v[16:17], v[6:7], v[68:69], v[4:5]
	v_mul_f64_e32 v[4:5], v[8:9], v[68:69]
	v_fma_f64 v[18:19], v[6:7], v[70:71], -v[4:5]
	ds_load_b128 v[4:7], v222 offset:4320
	ds_load_b128 v[8:11], v222 offset:4752
	scratch_load_b128 v[22:25], off, off offset:268 th:TH_LOAD_LU ; 16-byte Folded Reload
	s_wait_loadcnt_dscnt 0x1
	v_mul_f64_e32 v[12:13], v[24:25], v[6:7]
	s_delay_alu instid0(VALU_DEP_1) | instskip(SKIP_1) | instid1(VALU_DEP_1)
	v_fma_f64 v[20:21], v[22:23], v[4:5], v[12:13]
	v_mul_f64_e32 v[4:5], v[24:25], v[4:5]
	v_fma_f64 v[22:23], v[22:23], v[6:7], -v[4:5]
	ds_load_b128 v[4:7], v222 offset:2592
	ds_load_b128 v[12:15], v222 offset:3024
	s_clause 0x1
	scratch_load_b128 v[26:29], off, off offset:284 th:TH_LOAD_LU
	scratch_load_b128 v[30:33], off, off offset:300 th:TH_LOAD_LU
	s_wait_loadcnt_dscnt 0x101
	v_mul_f64_e32 v[24:25], v[28:29], v[6:7]
	s_delay_alu instid0(VALU_DEP_1) | instskip(SKIP_1) | instid1(VALU_DEP_1)
	v_fma_f64 v[24:25], v[26:27], v[4:5], v[24:25]
	v_mul_f64_e32 v[4:5], v[28:29], v[4:5]
	v_fma_f64 v[26:27], v[26:27], v[6:7], -v[4:5]
	s_wait_loadcnt 0x0
	v_mul_f64_e32 v[4:5], v[32:33], v[10:11]
	s_delay_alu instid0(VALU_DEP_1)
	v_fma_f64 v[28:29], v[30:31], v[8:9], v[4:5]
	v_mul_f64_e32 v[4:5], v[32:33], v[8:9]
	scratch_load_b128 v[6:9], off, off offset:332 th:TH_LOAD_LU ; 16-byte Folded Reload
	v_fma_f64 v[30:31], v[30:31], v[10:11], -v[4:5]
	s_wait_loadcnt_dscnt 0x0
	v_mul_f64_e32 v[4:5], v[8:9], v[14:15]
	s_delay_alu instid0(VALU_DEP_1) | instskip(SKIP_1) | instid1(VALU_DEP_1)
	v_fma_f64 v[36:37], v[6:7], v[12:13], v[4:5]
	v_mul_f64_e32 v[4:5], v[8:9], v[12:13]
	v_fma_f64 v[38:39], v[6:7], v[14:15], -v[4:5]
	ds_load_b128 v[4:7], v222 offset:5184
	ds_load_b128 v[8:11], v222 offset:5616
	scratch_load_b128 v[32:35], off, off offset:316 th:TH_LOAD_LU ; 16-byte Folded Reload
	s_wait_loadcnt_dscnt 0x1
	v_mul_f64_e32 v[12:13], v[34:35], v[6:7]
	s_delay_alu instid0(VALU_DEP_1) | instskip(SKIP_1) | instid1(VALU_DEP_2)
	v_fma_f64 v[40:41], v[32:33], v[4:5], v[12:13]
	v_mul_f64_e32 v[4:5], v[34:35], v[4:5]
	v_add_f64_e32 v[60:61], v[36:37], v[40:41]
	s_delay_alu instid0(VALU_DEP_2)
	v_fma_f64 v[42:43], v[32:33], v[6:7], -v[4:5]
	ds_load_b128 v[4:7], v222 offset:3456
	ds_load_b128 v[12:15], v222 offset:3888
	scratch_load_b128 v[46:49], off, off offset:348 th:TH_LOAD_LU ; 16-byte Folded Reload
	v_add_f64_e32 v[62:63], v[38:39], v[42:43]
	s_wait_loadcnt_dscnt 0x1
	v_mul_f64_e32 v[32:33], v[48:49], v[6:7]
	s_delay_alu instid0(VALU_DEP_1) | instskip(SKIP_2) | instid1(VALU_DEP_1)
	v_fma_f64 v[44:45], v[46:47], v[4:5], v[32:33]
	scratch_load_b128 v[32:35], off, off offset:364 th:TH_LOAD_LU ; 16-byte Folded Reload
	v_mul_f64_e32 v[4:5], v[48:49], v[4:5]
	v_fma_f64 v[46:47], v[46:47], v[6:7], -v[4:5]
	s_wait_loadcnt 0x0
	v_mul_f64_e32 v[4:5], v[34:35], v[10:11]
	s_delay_alu instid0(VALU_DEP_1)
	v_fma_f64 v[48:49], v[32:33], v[8:9], v[4:5]
	v_mul_f64_e32 v[4:5], v[34:35], v[8:9]
	scratch_load_b128 v[6:9], off, off offset:380 th:TH_LOAD_LU ; 16-byte Folded Reload
	v_fma_f64 v[50:51], v[32:33], v[10:11], -v[4:5]
	s_wait_loadcnt_dscnt 0x0
	v_mul_f64_e32 v[4:5], v[8:9], v[14:15]
	s_delay_alu instid0(VALU_DEP_1) | instskip(SKIP_2) | instid1(VALU_DEP_2)
	v_fma_f64 v[52:53], v[6:7], v[12:13], v[4:5]
	v_mul_f64_e32 v[4:5], v[8:9], v[12:13]
	v_add_f64_e32 v[12:13], v[16:17], v[20:21]
	v_fma_f64 v[54:55], v[6:7], v[14:15], -v[4:5]
	ds_load_b128 v[4:7], v222 offset:6048
	s_wait_dscnt 0x0
	v_mul_f64_e32 v[8:9], v[239:240], v[6:7]
	s_delay_alu instid0(VALU_DEP_1) | instskip(SKIP_1) | instid1(VALU_DEP_1)
	v_fma_f64 v[56:57], v[237:238], v[4:5], v[8:9]
	v_mul_f64_e32 v[4:5], v[239:240], v[4:5]
	v_fma_f64 v[58:59], v[237:238], v[6:7], -v[4:5]
	ds_load_b128 v[4:7], v222
	ds_load_b128 v[8:11], v222 offset:432
	s_wait_dscnt 0x1
	v_fma_f64 v[14:15], v[12:13], -0.5, v[4:5]
	v_add_f64_e32 v[12:13], v[18:19], v[22:23]
	v_add_f64_e32 v[4:5], v[4:5], v[16:17]
	s_delay_alu instid0(VALU_DEP_2) | instskip(SKIP_2) | instid1(VALU_DEP_4)
	v_fma_f64 v[32:33], v[12:13], -0.5, v[6:7]
	v_add_f64_e32 v[6:7], v[6:7], v[18:19]
	v_add_f64_e64 v[18:19], v[18:19], -v[22:23]
	v_add_f64_e32 v[4:5], v[4:5], v[20:21]
	v_add_f64_e64 v[20:21], v[16:17], -v[20:21]
	s_delay_alu instid0(VALU_DEP_4) | instskip(NEXT) | instid1(VALU_DEP_4)
	v_add_f64_e32 v[6:7], v[6:7], v[22:23]
	v_fma_f64 v[12:13], v[18:19], s[12:13], v[14:15]
	v_fma_f64 v[16:17], v[18:19], s[2:3], v[14:15]
	s_delay_alu instid0(VALU_DEP_4) | instskip(SKIP_3) | instid1(VALU_DEP_1)
	v_fma_f64 v[14:15], v[20:21], s[2:3], v[32:33]
	v_fma_f64 v[18:19], v[20:21], s[12:13], v[32:33]
	v_add_f64_e32 v[20:21], v[24:25], v[28:29]
	s_wait_dscnt 0x0
	v_fma_f64 v[22:23], v[20:21], -0.5, v[8:9]
	v_add_f64_e32 v[20:21], v[26:27], v[30:31]
	v_add_f64_e32 v[8:9], v[8:9], v[24:25]
	s_delay_alu instid0(VALU_DEP_2) | instskip(SKIP_2) | instid1(VALU_DEP_4)
	v_fma_f64 v[32:33], v[20:21], -0.5, v[10:11]
	v_add_f64_e32 v[10:11], v[10:11], v[26:27]
	v_add_f64_e64 v[26:27], v[26:27], -v[30:31]
	v_add_f64_e32 v[8:9], v[8:9], v[28:29]
	v_add_f64_e64 v[28:29], v[24:25], -v[28:29]
	s_delay_alu instid0(VALU_DEP_4) | instskip(NEXT) | instid1(VALU_DEP_4)
	v_add_f64_e32 v[10:11], v[10:11], v[30:31]
	v_fma_f64 v[20:21], v[26:27], s[12:13], v[22:23]
	v_fma_f64 v[24:25], v[26:27], s[2:3], v[22:23]
	s_delay_alu instid0(VALU_DEP_4)
	v_fma_f64 v[22:23], v[28:29], s[2:3], v[32:33]
	v_fma_f64 v[26:27], v[28:29], s[12:13], v[32:33]
	ds_load_b128 v[28:31], v222 offset:864
	ds_load_b128 v[32:35], v222 offset:1296
	s_wait_dscnt 0x1
	v_fma_f64 v[62:63], v[62:63], -0.5, v[30:31]
	v_add_f64_e32 v[30:31], v[30:31], v[38:39]
	v_fma_f64 v[60:61], v[60:61], -0.5, v[28:29]
	v_add_f64_e32 v[28:29], v[28:29], v[36:37]
	v_add_f64_e64 v[38:39], v[38:39], -v[42:43]
	s_delay_alu instid0(VALU_DEP_4) | instskip(SKIP_1) | instid1(VALU_DEP_4)
	v_add_f64_e32 v[30:31], v[30:31], v[42:43]
	v_add_f64_e64 v[42:43], v[36:37], -v[40:41]
	v_add_f64_e32 v[28:29], v[28:29], v[40:41]
	s_delay_alu instid0(VALU_DEP_4)
	v_fma_f64 v[36:37], v[38:39], s[12:13], v[60:61]
	v_fma_f64 v[40:41], v[38:39], s[2:3], v[60:61]
	v_add_f64_e32 v[60:61], v[44:45], v[48:49]
	v_fma_f64 v[38:39], v[42:43], s[2:3], v[62:63]
	v_fma_f64 v[42:43], v[42:43], s[12:13], v[62:63]
	v_add_f64_e32 v[62:63], v[46:47], v[50:51]
	s_wait_dscnt 0x0
	s_delay_alu instid0(VALU_DEP_4) | instskip(SKIP_1) | instid1(VALU_DEP_3)
	v_fma_f64 v[60:61], v[60:61], -0.5, v[32:33]
	v_add_f64_e32 v[32:33], v[32:33], v[44:45]
	v_fma_f64 v[62:63], v[62:63], -0.5, v[34:35]
	v_add_f64_e32 v[34:35], v[34:35], v[46:47]
	v_add_f64_e64 v[46:47], v[46:47], -v[50:51]
	s_delay_alu instid0(VALU_DEP_4) | instskip(NEXT) | instid1(VALU_DEP_3)
	v_add_f64_e32 v[32:33], v[32:33], v[48:49]
	v_add_f64_e32 v[34:35], v[34:35], v[50:51]
	v_add_f64_e64 v[50:51], v[44:45], -v[48:49]
	s_delay_alu instid0(VALU_DEP_4) | instskip(SKIP_2) | instid1(VALU_DEP_4)
	v_fma_f64 v[44:45], v[46:47], s[12:13], v[60:61]
	v_fma_f64 v[48:49], v[46:47], s[2:3], v[60:61]
	v_add_f64_e32 v[60:61], v[52:53], v[56:57]
	v_fma_f64 v[46:47], v[50:51], s[2:3], v[62:63]
	v_fma_f64 v[50:51], v[50:51], s[12:13], v[62:63]
	v_add_f64_e32 v[62:63], v[54:55], v[58:59]
	s_delay_alu instid0(VALU_DEP_4) | instskip(SKIP_1) | instid1(VALU_DEP_3)
	v_fma_f64 v[60:61], v[60:61], -0.5, v[0:1]
	v_add_f64_e32 v[0:1], v[0:1], v[52:53]
	v_fma_f64 v[62:63], v[62:63], -0.5, v[2:3]
	v_add_f64_e32 v[2:3], v[2:3], v[54:55]
	v_add_f64_e64 v[54:55], v[54:55], -v[58:59]
	s_delay_alu instid0(VALU_DEP_4) | instskip(NEXT) | instid1(VALU_DEP_3)
	v_add_f64_e32 v[0:1], v[0:1], v[56:57]
	v_add_f64_e32 v[2:3], v[2:3], v[58:59]
	v_add_f64_e64 v[58:59], v[52:53], -v[56:57]
	s_delay_alu instid0(VALU_DEP_4) | instskip(SKIP_1) | instid1(VALU_DEP_3)
	v_fma_f64 v[52:53], v[54:55], s[12:13], v[60:61]
	v_fma_f64 v[56:57], v[54:55], s[2:3], v[60:61]
	;; [unrolled: 1-line block ×4, first 2 shown]
	ds_store_b128 v222, v[4:7]
	ds_store_b128 v222, v[8:11] offset:432
	ds_store_b128 v222, v[28:31] offset:864
	;; [unrolled: 1-line block ×14, first 2 shown]
	global_wb scope:SCOPE_SE
	s_wait_dscnt 0x0
	s_barrier_signal -1
	s_barrier_wait -1
	global_inv scope:SCOPE_SE
	ds_load_b128 v[0:3], v222
	ds_load_b128 v[4:7], v222 offset:432
	scratch_load_b128 v[10:13], off, off offset:120 th:TH_LOAD_LU ; 16-byte Folded Reload
	s_mul_u64 s[2:3], s[4:5], 0x510
	s_wait_loadcnt_dscnt 0x1
	v_mul_f64_e32 v[8:9], v[12:13], v[2:3]
	s_delay_alu instid0(VALU_DEP_1) | instskip(SKIP_1) | instid1(VALU_DEP_1)
	v_fma_f64 v[24:25], v[10:11], v[0:1], v[8:9]
	v_mul_f64_e32 v[0:1], v[12:13], v[0:1]
	v_fma_f64 v[26:27], v[10:11], v[2:3], -v[0:1]
	ds_load_b128 v[0:3], v222 offset:1296
	ds_load_b128 v[8:11], v222 offset:864
	scratch_load_b128 v[14:17], off, off offset:8 th:TH_LOAD_LU ; 16-byte Folded Reload
	s_wait_loadcnt_dscnt 0x1
	v_mul_f64_e32 v[12:13], v[16:17], v[2:3]
	s_delay_alu instid0(VALU_DEP_1) | instskip(SKIP_1) | instid1(VALU_DEP_1)
	v_fma_f64 v[28:29], v[14:15], v[0:1], v[12:13]
	v_mul_f64_e32 v[0:1], v[16:17], v[0:1]
	v_fma_f64 v[30:31], v[14:15], v[2:3], -v[0:1]
	ds_load_b128 v[0:3], v222 offset:2592
	ds_load_b128 v[12:15], v222 offset:3024
	scratch_load_b128 v[18:21], off, off offset:24 th:TH_LOAD_LU ; 16-byte Folded Reload
	;; [unrolled: 9-line block ×3, first 2 shown]
	s_wait_loadcnt_dscnt 0x1
	v_mul_f64_e32 v[20:21], v[40:41], v[2:3]
	s_delay_alu instid0(VALU_DEP_1) | instskip(SKIP_1) | instid1(VALU_DEP_1)
	v_fma_f64 v[36:37], v[38:39], v[0:1], v[20:21]
	v_mul_f64_e32 v[0:1], v[40:41], v[0:1]
	v_fma_f64 v[38:39], v[38:39], v[2:3], -v[0:1]
	ds_load_b128 v[0:3], v222 offset:5184
	ds_load_b128 v[20:23], v222 offset:5616
	s_clause 0x1
	scratch_load_b128 v[42:45], off, off offset:56 th:TH_LOAD_LU
	scratch_load_b128 v[46:49], off, off offset:72 th:TH_LOAD_LU
	s_wait_loadcnt_dscnt 0x101
	v_mul_f64_e32 v[40:41], v[44:45], v[2:3]
	s_delay_alu instid0(VALU_DEP_1) | instskip(SKIP_1) | instid1(VALU_DEP_1)
	v_fma_f64 v[40:41], v[42:43], v[0:1], v[40:41]
	v_mul_f64_e32 v[0:1], v[44:45], v[0:1]
	v_fma_f64 v[42:43], v[42:43], v[2:3], -v[0:1]
	s_wait_loadcnt 0x0
	v_mul_f64_e32 v[0:1], v[48:49], v[6:7]
	s_delay_alu instid0(VALU_DEP_1) | instskip(SKIP_1) | instid1(VALU_DEP_1)
	v_fma_f64 v[44:45], v[46:47], v[4:5], v[0:1]
	v_mul_f64_e32 v[0:1], v[48:49], v[4:5]
	v_fma_f64 v[46:47], v[46:47], v[6:7], -v[0:1]
	ds_load_b128 v[0:3], v222 offset:1728
	ds_load_b128 v[4:7], v222 offset:2160
	s_clause 0x1
	scratch_load_b128 v[50:53], off, off offset:88 th:TH_LOAD_LU
	scratch_load_b128 v[54:57], off, off offset:104 th:TH_LOAD_LU
	s_wait_loadcnt_dscnt 0x101
	v_mul_f64_e32 v[48:49], v[52:53], v[2:3]
	s_delay_alu instid0(VALU_DEP_1) | instskip(SKIP_1) | instid1(VALU_DEP_1)
	v_fma_f64 v[48:49], v[50:51], v[0:1], v[48:49]
	v_mul_f64_e32 v[0:1], v[52:53], v[0:1]
	v_fma_f64 v[50:51], v[50:51], v[2:3], -v[0:1]
	s_wait_loadcnt 0x0
	;; [unrolled: 17-line block ×3, first 2 shown]
	v_mul_f64_e32 v[0:1], v[64:65], v[22:23]
	s_delay_alu instid0(VALU_DEP_1) | instskip(SKIP_1) | instid1(VALU_DEP_1)
	v_fma_f64 v[60:61], v[62:63], v[20:21], v[0:1]
	v_mul_f64_e32 v[0:1], v[64:65], v[20:21]
	v_fma_f64 v[20:21], v[62:63], v[22:23], -v[0:1]
	scratch_load_b128 v[62:65], off, off offset:168 th:TH_LOAD_LU ; 16-byte Folded Reload
	s_wait_loadcnt 0x0
	v_mul_f64_e32 v[0:1], v[64:65], v[10:11]
	s_delay_alu instid0(VALU_DEP_1) | instskip(SKIP_1) | instid1(VALU_DEP_1)
	v_fma_f64 v[22:23], v[62:63], v[8:9], v[0:1]
	v_mul_f64_e32 v[0:1], v[64:65], v[8:9]
	v_fma_f64 v[62:63], v[62:63], v[10:11], -v[0:1]
	scratch_load_b128 v[8:11], off, off offset:184 th:TH_LOAD_LU ; 16-byte Folded Reload
	s_wait_loadcnt 0x0
	v_mul_f64_e32 v[0:1], v[10:11], v[6:7]
	s_delay_alu instid0(VALU_DEP_1)
	v_fma_f64 v[64:65], v[8:9], v[4:5], v[0:1]
	v_mul_f64_e32 v[0:1], v[10:11], v[4:5]
	scratch_load_b128 v[2:5], off, off offset:200 th:TH_LOAD_LU ; 16-byte Folded Reload
	v_fma_f64 v[66:67], v[8:9], v[6:7], -v[0:1]
	scratch_load_b128 v[6:9], off, off offset:232 th:TH_LOAD_LU ; 16-byte Folded Reload
	s_wait_loadcnt 0x1
	v_mul_f64_e32 v[0:1], v[4:5], v[18:19]
	s_delay_alu instid0(VALU_DEP_1) | instskip(SKIP_1) | instid1(VALU_DEP_1)
	v_fma_f64 v[68:69], v[2:3], v[16:17], v[0:1]
	v_mul_f64_e32 v[0:1], v[4:5], v[16:17]
	v_fma_f64 v[70:71], v[2:3], v[18:19], -v[0:1]
	scratch_load_b128 v[2:5], off, off offset:216 th:TH_LOAD_LU ; 16-byte Folded Reload
	s_wait_loadcnt_dscnt 0x0
	v_mul_f64_e32 v[0:1], v[4:5], v[14:15]
	s_delay_alu instid0(VALU_DEP_1) | instskip(SKIP_1) | instid1(VALU_DEP_1)
	v_fma_f64 v[72:73], v[2:3], v[12:13], v[0:1]
	v_mul_f64_e32 v[0:1], v[4:5], v[12:13]
	v_fma_f64 v[74:75], v[2:3], v[14:15], -v[0:1]
	ds_load_b128 v[0:3], v222 offset:6048
	s_wait_dscnt 0x0
	v_mul_f64_e32 v[4:5], v[8:9], v[2:3]
	s_delay_alu instid0(VALU_DEP_1)
	v_fma_f64 v[76:77], v[6:7], v[0:1], v[4:5]
	v_mul_f64_e32 v[0:1], v[8:9], v[0:1]
	scratch_load_b32 v4, off, off offset:428 th:TH_LOAD_LU ; 4-byte Folded Reload
	v_fma_f64 v[78:79], v[6:7], v[2:3], -v[0:1]
	scratch_load_b64 v[2:3], off, off th:TH_LOAD_LU ; 8-byte Folded Reload
	s_wait_loadcnt 0x0
	v_mad_co_u64_u32 v[0:1], null, s6, v2, 0
	s_delay_alu instid0(VALU_DEP_1) | instskip(SKIP_1) | instid1(VALU_DEP_2)
	v_mad_co_u64_u32 v[1:2], null, s7, v2, v[1:2]
	v_mad_co_u64_u32 v[2:3], null, s4, v4, 0
	v_lshlrev_b64_e32 v[0:1], 4, v[0:1]
	s_delay_alu instid0(VALU_DEP_2) | instskip(SKIP_1) | instid1(VALU_DEP_2)
	v_mad_co_u64_u32 v[3:4], null, s5, v4, v[3:4]
	s_mulk_i32 s5, 0xed70
	v_add_co_u32 v4, vcc_lo, s0, v0
	s_wait_alu 0xfffd
	s_delay_alu instid0(VALU_DEP_3) | instskip(NEXT) | instid1(VALU_DEP_3)
	v_add_co_ci_u32_e32 v5, vcc_lo, s1, v1, vcc_lo
	v_lshlrev_b64_e32 v[0:1], 4, v[2:3]
	s_mov_b32 s0, 0x30abee4d
	s_mov_b32 s1, 0x3f643a27
	s_wait_alu 0xfffe
	s_sub_co_i32 s5, s5, s4
	v_mul_f64_e32 v[2:3], s[0:1], v[26:27]
	v_mul_f64_e32 v[6:7], s[0:1], v[50:51]
	v_add_co_u32 v4, vcc_lo, v4, v0
	s_wait_alu 0xfffd
	v_add_co_ci_u32_e32 v5, vcc_lo, v5, v1, vcc_lo
	v_mul_f64_e32 v[0:1], s[0:1], v[24:25]
	v_mul_f64_e32 v[10:11], s[0:1], v[58:59]
	;; [unrolled: 1-line block ×10, first 2 shown]
	global_store_b128 v[4:5], v[0:3], off
	v_mul_f64_e32 v[0:1], s[0:1], v[28:29]
	v_mul_f64_e32 v[2:3], s[0:1], v[30:31]
	v_add_co_u32 v4, vcc_lo, v4, s2
	s_wait_alu 0xfffd
	v_add_co_ci_u32_e32 v5, vcc_lo, s3, v5, vcc_lo
	v_mul_f64_e32 v[28:29], s[0:1], v[72:73]
	v_mul_f64_e32 v[30:31], s[0:1], v[74:75]
	global_store_b128 v[4:5], v[0:3], off
	v_mul_f64_e32 v[0:1], s[0:1], v[32:33]
	v_mul_f64_e32 v[2:3], s[0:1], v[34:35]
	v_add_co_u32 v4, vcc_lo, v4, s2
	s_wait_alu 0xfffd
	v_add_co_ci_u32_e32 v5, vcc_lo, s3, v5, vcc_lo
	v_mul_f64_e32 v[32:33], s[0:1], v[76:77]
	v_mul_f64_e32 v[34:35], s[0:1], v[78:79]
	global_store_b128 v[4:5], v[0:3], off
	v_mul_f64_e32 v[0:1], s[0:1], v[36:37]
	v_mul_f64_e32 v[2:3], s[0:1], v[38:39]
	v_add_co_u32 v4, vcc_lo, v4, s2
	s_wait_alu 0xfffd
	v_add_co_ci_u32_e32 v5, vcc_lo, s3, v5, vcc_lo
	global_store_b128 v[4:5], v[0:3], off
	v_mul_f64_e32 v[0:1], s[0:1], v[40:41]
	v_mul_f64_e32 v[2:3], s[0:1], v[42:43]
	v_add_co_u32 v4, vcc_lo, v4, s2
	s_wait_alu 0xfffd
	v_add_co_ci_u32_e32 v5, vcc_lo, s3, v5, vcc_lo
	s_delay_alu instid0(VALU_DEP_1) | instskip(SKIP_1) | instid1(VALU_DEP_1)
	v_mad_co_u64_u32 v[8:9], null, 0xffffed70, s4, v[4:5]
	s_wait_alu 0xfffe
	v_add_nc_u32_e32 v9, s5, v9
	s_delay_alu instid0(VALU_DEP_2) | instskip(SKIP_1) | instid1(VALU_DEP_2)
	v_add_co_u32 v36, vcc_lo, v8, s2
	s_wait_alu 0xfffd
	v_add_co_ci_u32_e32 v37, vcc_lo, s3, v9, vcc_lo
	s_delay_alu instid0(VALU_DEP_2) | instskip(SKIP_1) | instid1(VALU_DEP_2)
	v_add_co_u32 v38, vcc_lo, v36, s2
	s_wait_alu 0xfffd
	v_add_co_ci_u32_e32 v39, vcc_lo, s3, v37, vcc_lo
	;; [unrolled: 4-line block ×4, first 2 shown]
	global_store_b128 v[4:5], v[0:3], off
	v_mul_f64_e32 v[0:1], s[0:1], v[44:45]
	v_mul_f64_e32 v[2:3], s[0:1], v[46:47]
	;; [unrolled: 1-line block ×3, first 2 shown]
	global_store_b128 v[8:9], v[0:3], off
	v_mul_f64_e32 v[0:1], s[0:1], v[52:53]
	v_mul_f64_e32 v[2:3], s[0:1], v[54:55]
	;; [unrolled: 1-line block ×3, first 2 shown]
	global_store_b128 v[36:37], v[4:7], off
	v_mad_co_u64_u32 v[4:5], null, 0xffffed70, s4, v[42:43]
	s_delay_alu instid0(VALU_DEP_1) | instskip(NEXT) | instid1(VALU_DEP_2)
	v_add_nc_u32_e32 v5, s5, v5
	v_add_co_u32 v6, vcc_lo, v4, s2
	s_wait_alu 0xfffd
	s_delay_alu instid0(VALU_DEP_2) | instskip(NEXT) | instid1(VALU_DEP_2)
	v_add_co_ci_u32_e32 v7, vcc_lo, s3, v5, vcc_lo
	v_add_co_u32 v36, vcc_lo, v6, s2
	s_wait_alu 0xfffd
	s_delay_alu instid0(VALU_DEP_2) | instskip(SKIP_4) | instid1(VALU_DEP_2)
	v_add_co_ci_u32_e32 v37, vcc_lo, s3, v7, vcc_lo
	global_store_b128 v[38:39], v[0:3], off
	v_add_co_u32 v0, vcc_lo, v36, s2
	s_wait_alu 0xfffd
	v_add_co_ci_u32_e32 v1, vcc_lo, s3, v37, vcc_lo
	v_add_co_u32 v2, vcc_lo, v0, s2
	s_wait_alu 0xfffd
	s_delay_alu instid0(VALU_DEP_2)
	v_add_co_ci_u32_e32 v3, vcc_lo, s3, v1, vcc_lo
	global_store_b128 v[40:41], v[8:11], off
	global_store_b128 v[42:43], v[12:15], off
	global_store_b128 v[4:5], v[16:19], off
	global_store_b128 v[6:7], v[20:23], off
	global_store_b128 v[36:37], v[24:27], off
	global_store_b128 v[0:1], v[28:31], off
	global_store_b128 v[2:3], v[32:35], off
.LBB0_2:
	s_nop 0
	s_sendmsg sendmsg(MSG_DEALLOC_VGPRS)
	s_endpgm
	.section	.rodata,"a",@progbits
	.p2align	6, 0x0
	.amdhsa_kernel bluestein_single_back_len405_dim1_dp_op_CI_CI
		.amdhsa_group_segment_fixed_size 25920
		.amdhsa_private_segment_fixed_size 472
		.amdhsa_kernarg_size 104
		.amdhsa_user_sgpr_count 2
		.amdhsa_user_sgpr_dispatch_ptr 0
		.amdhsa_user_sgpr_queue_ptr 0
		.amdhsa_user_sgpr_kernarg_segment_ptr 1
		.amdhsa_user_sgpr_dispatch_id 0
		.amdhsa_user_sgpr_private_segment_size 0
		.amdhsa_wavefront_size32 1
		.amdhsa_uses_dynamic_stack 0
		.amdhsa_enable_private_segment 1
		.amdhsa_system_sgpr_workgroup_id_x 1
		.amdhsa_system_sgpr_workgroup_id_y 0
		.amdhsa_system_sgpr_workgroup_id_z 0
		.amdhsa_system_sgpr_workgroup_info 0
		.amdhsa_system_vgpr_workitem_id 0
		.amdhsa_next_free_vgpr 256
		.amdhsa_next_free_sgpr 25
		.amdhsa_reserve_vcc 1
		.amdhsa_float_round_mode_32 0
		.amdhsa_float_round_mode_16_64 0
		.amdhsa_float_denorm_mode_32 3
		.amdhsa_float_denorm_mode_16_64 3
		.amdhsa_fp16_overflow 0
		.amdhsa_workgroup_processor_mode 1
		.amdhsa_memory_ordered 1
		.amdhsa_forward_progress 0
		.amdhsa_round_robin_scheduling 0
		.amdhsa_exception_fp_ieee_invalid_op 0
		.amdhsa_exception_fp_denorm_src 0
		.amdhsa_exception_fp_ieee_div_zero 0
		.amdhsa_exception_fp_ieee_overflow 0
		.amdhsa_exception_fp_ieee_underflow 0
		.amdhsa_exception_fp_ieee_inexact 0
		.amdhsa_exception_int_div_zero 0
	.end_amdhsa_kernel
	.text
.Lfunc_end0:
	.size	bluestein_single_back_len405_dim1_dp_op_CI_CI, .Lfunc_end0-bluestein_single_back_len405_dim1_dp_op_CI_CI
                                        ; -- End function
	.section	.AMDGPU.csdata,"",@progbits
; Kernel info:
; codeLenInByte = 18844
; NumSgprs: 27
; NumVgprs: 256
; ScratchSize: 472
; MemoryBound: 0
; FloatMode: 240
; IeeeMode: 1
; LDSByteSize: 25920 bytes/workgroup (compile time only)
; SGPRBlocks: 3
; VGPRBlocks: 31
; NumSGPRsForWavesPerEU: 27
; NumVGPRsForWavesPerEU: 256
; Occupancy: 5
; WaveLimiterHint : 1
; COMPUTE_PGM_RSRC2:SCRATCH_EN: 1
; COMPUTE_PGM_RSRC2:USER_SGPR: 2
; COMPUTE_PGM_RSRC2:TRAP_HANDLER: 0
; COMPUTE_PGM_RSRC2:TGID_X_EN: 1
; COMPUTE_PGM_RSRC2:TGID_Y_EN: 0
; COMPUTE_PGM_RSRC2:TGID_Z_EN: 0
; COMPUTE_PGM_RSRC2:TIDIG_COMP_CNT: 0
	.text
	.p2alignl 7, 3214868480
	.fill 96, 4, 3214868480
	.type	__hip_cuid_3a7fc429f349f7f8,@object ; @__hip_cuid_3a7fc429f349f7f8
	.section	.bss,"aw",@nobits
	.globl	__hip_cuid_3a7fc429f349f7f8
__hip_cuid_3a7fc429f349f7f8:
	.byte	0                               ; 0x0
	.size	__hip_cuid_3a7fc429f349f7f8, 1

	.ident	"AMD clang version 19.0.0git (https://github.com/RadeonOpenCompute/llvm-project roc-6.4.0 25133 c7fe45cf4b819c5991fe208aaa96edf142730f1d)"
	.section	".note.GNU-stack","",@progbits
	.addrsig
	.addrsig_sym __hip_cuid_3a7fc429f349f7f8
	.amdgpu_metadata
---
amdhsa.kernels:
  - .args:
      - .actual_access:  read_only
        .address_space:  global
        .offset:         0
        .size:           8
        .value_kind:     global_buffer
      - .actual_access:  read_only
        .address_space:  global
        .offset:         8
        .size:           8
        .value_kind:     global_buffer
      - .actual_access:  read_only
        .address_space:  global
        .offset:         16
        .size:           8
        .value_kind:     global_buffer
      - .actual_access:  read_only
        .address_space:  global
        .offset:         24
        .size:           8
        .value_kind:     global_buffer
      - .actual_access:  read_only
        .address_space:  global
        .offset:         32
        .size:           8
        .value_kind:     global_buffer
      - .offset:         40
        .size:           8
        .value_kind:     by_value
      - .address_space:  global
        .offset:         48
        .size:           8
        .value_kind:     global_buffer
      - .address_space:  global
        .offset:         56
        .size:           8
        .value_kind:     global_buffer
      - .address_space:  global
        .offset:         64
        .size:           8
        .value_kind:     global_buffer
      - .address_space:  global
        .offset:         72
        .size:           8
        .value_kind:     global_buffer
      - .offset:         80
        .size:           4
        .value_kind:     by_value
      - .address_space:  global
        .offset:         88
        .size:           8
        .value_kind:     global_buffer
      - .address_space:  global
        .offset:         96
        .size:           8
        .value_kind:     global_buffer
    .group_segment_fixed_size: 25920
    .kernarg_segment_align: 8
    .kernarg_segment_size: 104
    .language:       OpenCL C
    .language_version:
      - 2
      - 0
    .max_flat_workgroup_size: 108
    .name:           bluestein_single_back_len405_dim1_dp_op_CI_CI
    .private_segment_fixed_size: 472
    .sgpr_count:     27
    .sgpr_spill_count: 0
    .symbol:         bluestein_single_back_len405_dim1_dp_op_CI_CI.kd
    .uniform_work_group_size: 1
    .uses_dynamic_stack: false
    .vgpr_count:     256
    .vgpr_spill_count: 117
    .wavefront_size: 32
    .workgroup_processor_mode: 1
amdhsa.target:   amdgcn-amd-amdhsa--gfx1201
amdhsa.version:
  - 1
  - 2
...

	.end_amdgpu_metadata
